;; amdgpu-corpus repo=ROCm/rocFFT kind=compiled arch=gfx1030 opt=O3
	.text
	.amdgcn_target "amdgcn-amd-amdhsa--gfx1030"
	.amdhsa_code_object_version 6
	.protected	fft_rtc_back_len1190_factors_17_2_5_7_wgs_255_tpt_85_halfLds_sp_ip_CI_sbrr_dirReg ; -- Begin function fft_rtc_back_len1190_factors_17_2_5_7_wgs_255_tpt_85_halfLds_sp_ip_CI_sbrr_dirReg
	.globl	fft_rtc_back_len1190_factors_17_2_5_7_wgs_255_tpt_85_halfLds_sp_ip_CI_sbrr_dirReg
	.p2align	8
	.type	fft_rtc_back_len1190_factors_17_2_5_7_wgs_255_tpt_85_halfLds_sp_ip_CI_sbrr_dirReg,@function
fft_rtc_back_len1190_factors_17_2_5_7_wgs_255_tpt_85_halfLds_sp_ip_CI_sbrr_dirReg: ; @fft_rtc_back_len1190_factors_17_2_5_7_wgs_255_tpt_85_halfLds_sp_ip_CI_sbrr_dirReg
; %bb.0:
	s_clause 0x1
	s_load_dwordx2 s[14:15], s[4:5], 0x18
	s_load_dwordx4 s[8:11], s[4:5], 0x0
	v_mul_u32_u24_e32 v1, 0x304, v0
	v_mov_b32_e32 v3, 0
	s_load_dwordx2 s[12:13], s[4:5], 0x50
	s_waitcnt lgkmcnt(0)
	s_load_dwordx2 s[2:3], s[14:15], 0x0
	v_lshrrev_b32_e32 v1, 16, v1
	v_cmp_lt_u64_e64 s0, s[10:11], 2
	v_mad_u64_u32 v[36:37], null, s6, 3, v[1:2]
	v_mov_b32_e32 v37, v3
	v_mov_b32_e32 v1, 0
	;; [unrolled: 1-line block ×3, first 2 shown]
	s_and_b32 vcc_lo, exec_lo, s0
	v_mov_b32_e32 v7, v36
	v_mov_b32_e32 v8, v37
	s_cbranch_vccnz .LBB0_8
; %bb.1:
	s_load_dwordx2 s[0:1], s[4:5], 0x10
	v_mov_b32_e32 v1, 0
	v_mov_b32_e32 v5, v36
	s_add_u32 s6, s14, 8
	v_mov_b32_e32 v2, 0
	v_mov_b32_e32 v6, v37
	s_addc_u32 s7, s15, 0
	s_mov_b64 s[18:19], 1
	s_waitcnt lgkmcnt(0)
	s_add_u32 s16, s0, 8
	s_addc_u32 s17, s1, 0
.LBB0_2:                                ; =>This Inner Loop Header: Depth=1
	s_load_dwordx2 s[20:21], s[16:17], 0x0
                                        ; implicit-def: $vgpr7_vgpr8
	s_mov_b32 s0, exec_lo
	s_waitcnt lgkmcnt(0)
	v_or_b32_e32 v4, s21, v6
	v_cmpx_ne_u64_e32 0, v[3:4]
	s_xor_b32 s1, exec_lo, s0
	s_cbranch_execz .LBB0_4
; %bb.3:                                ;   in Loop: Header=BB0_2 Depth=1
	v_cvt_f32_u32_e32 v4, s20
	v_cvt_f32_u32_e32 v7, s21
	s_sub_u32 s0, 0, s20
	s_subb_u32 s22, 0, s21
	v_fmac_f32_e32 v4, 0x4f800000, v7
	v_rcp_f32_e32 v4, v4
	v_mul_f32_e32 v4, 0x5f7ffffc, v4
	v_mul_f32_e32 v7, 0x2f800000, v4
	v_trunc_f32_e32 v7, v7
	v_fmac_f32_e32 v4, 0xcf800000, v7
	v_cvt_u32_f32_e32 v7, v7
	v_cvt_u32_f32_e32 v4, v4
	v_mul_lo_u32 v8, s0, v7
	v_mul_hi_u32 v9, s0, v4
	v_mul_lo_u32 v10, s22, v4
	v_add_nc_u32_e32 v8, v9, v8
	v_mul_lo_u32 v9, s0, v4
	v_add_nc_u32_e32 v8, v8, v10
	v_mul_hi_u32 v10, v4, v9
	v_mul_lo_u32 v11, v4, v8
	v_mul_hi_u32 v12, v4, v8
	v_mul_hi_u32 v13, v7, v9
	v_mul_lo_u32 v9, v7, v9
	v_mul_hi_u32 v14, v7, v8
	v_mul_lo_u32 v8, v7, v8
	v_add_co_u32 v10, vcc_lo, v10, v11
	v_add_co_ci_u32_e32 v11, vcc_lo, 0, v12, vcc_lo
	v_add_co_u32 v9, vcc_lo, v10, v9
	v_add_co_ci_u32_e32 v9, vcc_lo, v11, v13, vcc_lo
	v_add_co_ci_u32_e32 v10, vcc_lo, 0, v14, vcc_lo
	v_add_co_u32 v8, vcc_lo, v9, v8
	v_add_co_ci_u32_e32 v9, vcc_lo, 0, v10, vcc_lo
	v_add_co_u32 v4, vcc_lo, v4, v8
	v_add_co_ci_u32_e32 v7, vcc_lo, v7, v9, vcc_lo
	v_mul_hi_u32 v8, s0, v4
	v_mul_lo_u32 v10, s22, v4
	v_mul_lo_u32 v9, s0, v7
	v_add_nc_u32_e32 v8, v8, v9
	v_mul_lo_u32 v9, s0, v4
	v_add_nc_u32_e32 v8, v8, v10
	v_mul_hi_u32 v10, v4, v9
	v_mul_lo_u32 v11, v4, v8
	v_mul_hi_u32 v12, v4, v8
	v_mul_hi_u32 v13, v7, v9
	v_mul_lo_u32 v9, v7, v9
	v_mul_hi_u32 v14, v7, v8
	v_mul_lo_u32 v8, v7, v8
	v_add_co_u32 v10, vcc_lo, v10, v11
	v_add_co_ci_u32_e32 v11, vcc_lo, 0, v12, vcc_lo
	v_add_co_u32 v9, vcc_lo, v10, v9
	v_add_co_ci_u32_e32 v9, vcc_lo, v11, v13, vcc_lo
	v_add_co_ci_u32_e32 v10, vcc_lo, 0, v14, vcc_lo
	v_add_co_u32 v8, vcc_lo, v9, v8
	v_add_co_ci_u32_e32 v9, vcc_lo, 0, v10, vcc_lo
	v_add_co_u32 v4, vcc_lo, v4, v8
	v_add_co_ci_u32_e32 v11, vcc_lo, v7, v9, vcc_lo
	v_mul_hi_u32 v13, v5, v4
	v_mad_u64_u32 v[9:10], null, v6, v4, 0
	v_mad_u64_u32 v[7:8], null, v5, v11, 0
	v_mad_u64_u32 v[11:12], null, v6, v11, 0
	v_add_co_u32 v4, vcc_lo, v13, v7
	v_add_co_ci_u32_e32 v7, vcc_lo, 0, v8, vcc_lo
	v_add_co_u32 v4, vcc_lo, v4, v9
	v_add_co_ci_u32_e32 v4, vcc_lo, v7, v10, vcc_lo
	v_add_co_ci_u32_e32 v7, vcc_lo, 0, v12, vcc_lo
	v_add_co_u32 v4, vcc_lo, v4, v11
	v_add_co_ci_u32_e32 v9, vcc_lo, 0, v7, vcc_lo
	v_mul_lo_u32 v10, s21, v4
	v_mad_u64_u32 v[7:8], null, s20, v4, 0
	v_mul_lo_u32 v11, s20, v9
	v_sub_co_u32 v7, vcc_lo, v5, v7
	v_add3_u32 v8, v8, v11, v10
	v_sub_nc_u32_e32 v10, v6, v8
	v_subrev_co_ci_u32_e64 v10, s0, s21, v10, vcc_lo
	v_add_co_u32 v11, s0, v4, 2
	v_add_co_ci_u32_e64 v12, s0, 0, v9, s0
	v_sub_co_u32 v13, s0, v7, s20
	v_sub_co_ci_u32_e32 v8, vcc_lo, v6, v8, vcc_lo
	v_subrev_co_ci_u32_e64 v10, s0, 0, v10, s0
	v_cmp_le_u32_e32 vcc_lo, s20, v13
	v_cmp_eq_u32_e64 s0, s21, v8
	v_cndmask_b32_e64 v13, 0, -1, vcc_lo
	v_cmp_le_u32_e32 vcc_lo, s21, v10
	v_cndmask_b32_e64 v14, 0, -1, vcc_lo
	v_cmp_le_u32_e32 vcc_lo, s20, v7
	;; [unrolled: 2-line block ×3, first 2 shown]
	v_cndmask_b32_e64 v15, 0, -1, vcc_lo
	v_cmp_eq_u32_e32 vcc_lo, s21, v10
	v_cndmask_b32_e64 v7, v15, v7, s0
	v_cndmask_b32_e32 v10, v14, v13, vcc_lo
	v_add_co_u32 v13, vcc_lo, v4, 1
	v_add_co_ci_u32_e32 v14, vcc_lo, 0, v9, vcc_lo
	v_cmp_ne_u32_e32 vcc_lo, 0, v10
	v_cndmask_b32_e32 v8, v14, v12, vcc_lo
	v_cndmask_b32_e32 v10, v13, v11, vcc_lo
	v_cmp_ne_u32_e32 vcc_lo, 0, v7
	v_cndmask_b32_e32 v8, v9, v8, vcc_lo
	v_cndmask_b32_e32 v7, v4, v10, vcc_lo
.LBB0_4:                                ;   in Loop: Header=BB0_2 Depth=1
	s_andn2_saveexec_b32 s0, s1
	s_cbranch_execz .LBB0_6
; %bb.5:                                ;   in Loop: Header=BB0_2 Depth=1
	v_cvt_f32_u32_e32 v4, s20
	s_sub_i32 s1, 0, s20
	v_rcp_iflag_f32_e32 v4, v4
	v_mul_f32_e32 v4, 0x4f7ffffe, v4
	v_cvt_u32_f32_e32 v4, v4
	v_mul_lo_u32 v7, s1, v4
	v_mul_hi_u32 v7, v4, v7
	v_add_nc_u32_e32 v4, v4, v7
	v_mul_hi_u32 v4, v5, v4
	v_mul_lo_u32 v7, v4, s20
	v_add_nc_u32_e32 v8, 1, v4
	v_sub_nc_u32_e32 v7, v5, v7
	v_subrev_nc_u32_e32 v9, s20, v7
	v_cmp_le_u32_e32 vcc_lo, s20, v7
	v_cndmask_b32_e32 v7, v7, v9, vcc_lo
	v_cndmask_b32_e32 v4, v4, v8, vcc_lo
	v_cmp_le_u32_e32 vcc_lo, s20, v7
	v_add_nc_u32_e32 v8, 1, v4
	v_cndmask_b32_e32 v7, v4, v8, vcc_lo
	v_mov_b32_e32 v8, v3
.LBB0_6:                                ;   in Loop: Header=BB0_2 Depth=1
	s_or_b32 exec_lo, exec_lo, s0
	s_load_dwordx2 s[0:1], s[6:7], 0x0
	v_mul_lo_u32 v4, v8, s20
	v_mul_lo_u32 v11, v7, s21
	v_mad_u64_u32 v[9:10], null, v7, s20, 0
	s_add_u32 s18, s18, 1
	s_addc_u32 s19, s19, 0
	s_add_u32 s6, s6, 8
	s_addc_u32 s7, s7, 0
	s_add_u32 s16, s16, 8
	s_addc_u32 s17, s17, 0
	v_add3_u32 v4, v10, v11, v4
	v_sub_co_u32 v5, vcc_lo, v5, v9
	v_sub_co_ci_u32_e32 v4, vcc_lo, v6, v4, vcc_lo
	s_waitcnt lgkmcnt(0)
	v_mul_lo_u32 v6, s1, v5
	v_mul_lo_u32 v4, s0, v4
	v_mad_u64_u32 v[1:2], null, s0, v5, v[1:2]
	v_cmp_ge_u64_e64 s0, s[18:19], s[10:11]
	s_and_b32 vcc_lo, exec_lo, s0
	v_add3_u32 v2, v6, v2, v4
	s_cbranch_vccnz .LBB0_8
; %bb.7:                                ;   in Loop: Header=BB0_2 Depth=1
	v_mov_b32_e32 v5, v7
	v_mov_b32_e32 v6, v8
	s_branch .LBB0_2
.LBB0_8:
	s_lshl_b64 s[0:1], s[10:11], 3
	v_mul_hi_u32 v4, 0x3030304, v0
	s_add_u32 s0, s14, s0
	s_addc_u32 s1, s15, s1
                                        ; implicit-def: $vgpr11
                                        ; implicit-def: $vgpr17
                                        ; implicit-def: $vgpr15
                                        ; implicit-def: $vgpr9
                                        ; implicit-def: $vgpr25
                                        ; implicit-def: $vgpr23
                                        ; implicit-def: $vgpr21
                                        ; implicit-def: $vgpr19
                                        ; implicit-def: $vgpr33
                                        ; implicit-def: $vgpr27
                                        ; implicit-def: $vgpr29
                                        ; implicit-def: $vgpr31
                                        ; implicit-def: $vgpr35
	s_load_dwordx2 s[0:1], s[0:1], 0x0
	s_load_dwordx2 s[4:5], s[4:5], 0x20
	s_waitcnt lgkmcnt(0)
	v_mul_lo_u32 v5, s0, v8
	v_mul_lo_u32 v6, s1, v7
	v_mad_u64_u32 v[2:3], null, s0, v7, v[1:2]
	v_mul_u32_u24_e32 v1, 0x55, v4
	v_cmp_gt_u64_e32 vcc_lo, s[4:5], v[7:8]
                                        ; implicit-def: $vgpr7
	v_sub_nc_u32_e32 v52, v0, v1
	v_add3_u32 v3, v6, v3, v5
	v_mov_b32_e32 v1, 0
	v_mov_b32_e32 v0, 0
                                        ; implicit-def: $vgpr5
	v_cmp_gt_u32_e64 s0, 0x46, v52
	v_lshlrev_b64 v[12:13], 3, v[2:3]
                                        ; implicit-def: $vgpr3
	s_and_b32 s1, vcc_lo, s0
	s_and_saveexec_b32 s4, s1
	s_cbranch_execz .LBB0_10
; %bb.9:
	v_add_nc_u32_e32 v8, 0x46, v52
	v_add_nc_u32_e32 v9, 0x8c, v52
	v_mad_u64_u32 v[0:1], null, s2, v52, 0
	v_add_nc_u32_e32 v10, 0xd2, v52
	v_mad_u64_u32 v[2:3], null, s2, v8, 0
	v_mad_u64_u32 v[4:5], null, s2, v9, 0
	v_add_nc_u32_e32 v11, 0x118, v52
	v_add_nc_u32_e32 v18, 0x15e, v52
	v_add_co_u32 v42, s1, s12, v12
	v_mad_u64_u32 v[6:7], null, s3, v52, v[1:2]
	v_mov_b32_e32 v1, v3
	v_mov_b32_e32 v3, v5
	v_mad_u64_u32 v[14:15], null, s2, v11, 0
	v_mad_u64_u32 v[16:17], null, s2, v18, 0
	;; [unrolled: 1-line block ×3, first 2 shown]
	v_mov_b32_e32 v1, v6
	v_mad_u64_u32 v[5:6], null, s3, v9, v[3:4]
	v_mad_u64_u32 v[8:9], null, s2, v10, 0
	v_lshlrev_b64 v[0:1], 3, v[0:1]
	v_mov_b32_e32 v3, v7
	v_add_co_ci_u32_e64 v43, s1, s13, v13, s1
	v_lshlrev_b64 v[4:5], 3, v[4:5]
	v_add_nc_u32_e32 v22, 0x1a4, v52
	v_mov_b32_e32 v6, v9
	v_lshlrev_b64 v[2:3], 3, v[2:3]
	v_add_co_u32 v0, s1, v42, v0
	v_add_co_ci_u32_e64 v1, s1, v43, v1, s1
	v_mad_u64_u32 v[6:7], null, s3, v10, v[6:7]
	v_mov_b32_e32 v7, v17
	v_add_co_u32 v2, s1, v42, v2
	v_add_co_ci_u32_e64 v3, s1, v43, v3, s1
	v_add_co_u32 v4, s1, v42, v4
	v_mov_b32_e32 v9, v6
	v_mov_b32_e32 v6, v15
	v_add_co_ci_u32_e64 v5, s1, v43, v5, s1
	v_add_nc_u32_e32 v23, 0x1ea, v52
	v_lshlrev_b64 v[8:9], 3, v[8:9]
	v_mad_u64_u32 v[10:11], null, s3, v11, v[6:7]
	v_add_nc_u32_e32 v24, 0x230, v52
	v_mad_u64_u32 v[20:21], null, s2, v23, 0
	v_mad_u64_u32 v[6:7], null, s3, v18, v[7:8]
	v_add_co_u32 v8, s1, v42, v8
	v_add_co_ci_u32_e64 v9, s1, v43, v9, s1
	v_mov_b32_e32 v15, v10
	v_mad_u64_u32 v[18:19], null, s2, v22, 0
	v_mov_b32_e32 v17, v6
	s_clause 0x3
	global_load_dwordx2 v[0:1], v[0:1], off
	global_load_dwordx2 v[10:11], v[2:3], off
	;; [unrolled: 1-line block ×4, first 2 shown]
	v_mov_b32_e32 v9, v21
	v_lshlrev_b64 v[4:5], 3, v[14:15]
	v_add_nc_u32_e32 v28, 0x276, v52
	v_lshlrev_b64 v[14:15], 3, v[16:17]
	v_mov_b32_e32 v8, v19
	v_add_nc_u32_e32 v30, 0x2bc, v52
	v_add_nc_u32_e32 v35, 0x38e, v52
	v_add_co_u32 v4, s1, v42, v4
	v_mad_u64_u32 v[16:17], null, s3, v22, v[8:9]
	v_add_co_ci_u32_e64 v5, s1, v43, v5, s1
	v_add_nc_u32_e32 v39, 0x3d4, v52
	v_add_nc_u32_e32 v44, 0x41a, v52
	v_mov_b32_e32 v19, v16
	v_mad_u64_u32 v[37:38], null, s2, v44, 0
	s_waitcnt vmcnt(2)
	v_mad_u64_u32 v[8:9], null, s3, v23, v[9:10]
	v_mad_u64_u32 v[22:23], null, s2, v24, 0
	v_mov_b32_e32 v21, v8
	v_add_co_u32 v8, s1, v42, v14
	v_add_co_ci_u32_e64 v9, s1, v43, v15, s1
	v_lshlrev_b64 v[15:16], 3, v[18:19]
	v_mov_b32_e32 v14, v23
	v_lshlrev_b64 v[17:18], 3, v[20:21]
	v_mad_u64_u32 v[19:20], null, s3, v24, v[14:15]
	v_mad_u64_u32 v[20:21], null, s2, v28, 0
	v_add_co_u32 v24, s1, v42, v15
	v_add_co_ci_u32_e64 v25, s1, v43, v16, s1
	v_add_co_u32 v26, s1, v42, v17
	v_mov_b32_e32 v14, v21
	v_add_co_ci_u32_e64 v27, s1, v43, v18, s1
	v_mov_b32_e32 v23, v19
	v_mad_u64_u32 v[18:19], null, s2, v30, 0
	v_mad_u64_u32 v[28:29], null, s3, v28, v[14:15]
	v_add_nc_u32_e32 v29, 0x302, v52
	s_clause 0x3
	global_load_dwordx2 v[16:17], v[4:5], off
	global_load_dwordx2 v[14:15], v[8:9], off
	;; [unrolled: 1-line block ×4, first 2 shown]
	v_lshlrev_b64 v[22:23], 3, v[22:23]
	v_mad_u64_u32 v[26:27], null, s3, v30, v[19:20]
	v_mad_u64_u32 v[24:25], null, s2, v29, 0
	v_add_nc_u32_e32 v30, 0x348, v52
	v_mov_b32_e32 v21, v28
	v_add_co_u32 v22, s1, v42, v22
	v_mov_b32_e32 v19, v26
	v_add_co_ci_u32_e64 v23, s1, v43, v23, s1
	v_mad_u64_u32 v[25:26], null, s3, v29, v[25:26]
	v_mad_u64_u32 v[26:27], null, s2, v30, 0
	;; [unrolled: 1-line block ×3, first 2 shown]
	v_lshlrev_b64 v[20:21], 3, v[20:21]
	v_lshlrev_b64 v[18:19], 3, v[18:19]
	;; [unrolled: 1-line block ×3, first 2 shown]
	v_mad_u64_u32 v[30:31], null, s3, v30, v[27:28]
	v_mad_u64_u32 v[31:32], null, s2, v39, 0
	v_add_co_u32 v20, s1, v42, v20
	v_add_co_ci_u32_e64 v21, s1, v43, v21, s1
	v_add_co_u32 v18, s1, v42, v18
	v_add_co_ci_u32_e64 v19, s1, v43, v19, s1
	v_add_co_u32 v33, s1, v42, v24
	v_mov_b32_e32 v24, v32
	v_mov_b32_e32 v27, v30
	v_mad_u64_u32 v[29:30], null, s3, v35, v[29:30]
	v_add_nc_u32_e32 v35, 0x460, v52
	v_mad_u64_u32 v[39:40], null, s3, v39, v[24:25]
	v_mov_b32_e32 v30, v38
	v_add_co_ci_u32_e64 v34, s1, v43, v25, s1
	v_mad_u64_u32 v[40:41], null, s2, v35, 0
	s_clause 0x3
	global_load_dwordx2 v[24:25], v[22:23], off
	global_load_dwordx2 v[22:23], v[20:21], off
	;; [unrolled: 1-line block ×4, first 2 shown]
	v_mad_u64_u32 v[33:34], null, s3, v44, v[30:31]
	v_lshlrev_b64 v[26:27], 3, v[26:27]
	v_mov_b32_e32 v32, v39
	v_lshlrev_b64 v[28:29], 3, v[28:29]
	v_mov_b32_e32 v30, v41
	v_mov_b32_e32 v38, v33
	v_add_co_u32 v26, s1, v42, v26
	v_mad_u64_u32 v[34:35], null, s3, v35, v[30:31]
	v_lshlrev_b64 v[30:31], 3, v[31:32]
	v_add_co_ci_u32_e64 v27, s1, v43, v27, s1
	v_add_co_u32 v28, s1, v42, v28
	v_lshlrev_b64 v[32:33], 3, v[37:38]
	v_mov_b32_e32 v41, v34
	v_add_co_ci_u32_e64 v29, s1, v43, v29, s1
	v_add_co_u32 v30, s1, v42, v30
	v_lshlrev_b64 v[34:35], 3, v[40:41]
	v_add_co_ci_u32_e64 v31, s1, v43, v31, s1
	v_add_co_u32 v37, s1, v42, v32
	v_add_co_ci_u32_e64 v38, s1, v43, v33, s1
	v_add_co_u32 v39, s1, v42, v34
	v_add_co_ci_u32_e64 v40, s1, v43, v35, s1
	s_clause 0x4
	global_load_dwordx2 v[32:33], v[26:27], off
	global_load_dwordx2 v[34:35], v[28:29], off
	;; [unrolled: 1-line block ×5, first 2 shown]
.LBB0_10:
	s_or_b32 exec_lo, exec_lo, s4
	s_waitcnt vmcnt(0)
	v_sub_f32_e32 v43, v11, v27
	v_add_f32_e32 v49, v10, v26
	v_sub_f32_e32 v40, v7, v29
	v_add_f32_e32 v51, v6, v28
	v_sub_f32_e32 v38, v3, v31
	v_mul_f32_e32 v62, 0xbf65296c, v43
	v_add_f32_e32 v50, v2, v30
	v_mul_f32_e32 v64, 0xbf4c4adb, v40
	v_sub_f32_e32 v37, v17, v35
	v_mul_f32_e32 v63, 0x3e3c28d5, v38
	v_fma_f32 v39, 0x3ee437d1, v49, -v62
	v_add_f32_e32 v46, v16, v34
	v_fma_f32 v41, 0xbf1a4643, v51, -v64
	v_mul_f32_e32 v60, 0x3f763a35, v37
	v_fma_f32 v48, 0xbf7ba420, v50, -v63
	v_add_f32_e32 v42, v0, v39
	v_sub_f32_e32 v39, v15, v33
	v_mul_hi_u32 v47, 0xaaaaaaab, v36
	v_add_f32_e32 v44, v14, v32
	v_fma_f32 v53, 0xbe8c1d8e, v46, -v60
	v_add_f32_e32 v42, v42, v41
	v_sub_f32_e32 v41, v9, v19
	v_mul_f32_e32 v61, 0x3f2c7751, v39
	v_add_f32_e32 v45, v8, v18
	v_add_f32_e32 v54, v42, v48
	v_sub_f32_e32 v42, v5, v21
	v_mul_f32_e32 v58, 0xbeb8f4ab, v41
	v_fma_f32 v55, 0x3f3d2fb0, v44, -v61
	v_add_f32_e32 v48, v4, v20
	v_add_f32_e32 v53, v54, v53
	v_lshrrev_b32_e32 v54, 1, v47
	v_sub_f32_e32 v47, v25, v23
	v_mul_f32_e32 v59, 0xbf7ee86f, v42
	v_fma_f32 v56, 0x3f6eb680, v45, -v58
	v_add_f32_e32 v53, v55, v53
	v_lshl_add_u32 v54, v54, 1, v54
	v_add_f32_e32 v55, v24, v22
	v_mul_f32_e32 v57, 0xbf06c442, v47
	v_fma_f32 v65, 0x3dbcf732, v48, -v59
	v_add_f32_e32 v53, v56, v53
	v_sub_nc_u32_e32 v36, v36, v54
	v_fma_f32 v54, 0xbf59a7d5, v55, -v57
	v_add_f32_e32 v53, v65, v53
	v_mul_u32_u24_e32 v36, 0x4a6, v36
	v_add_f32_e32 v54, v54, v53
	v_lshlrev_b32_e32 v53, 2, v36
	s_and_saveexec_b32 s1, s0
	s_cbranch_execz .LBB0_12
; %bb.11:
	v_mul_f32_e32 v36, 0xbf7ba420, v49
	v_mul_f32_e32 v56, 0x3f6eb680, v51
	;; [unrolled: 1-line block ×5, first 2 shown]
	v_fmamk_f32 v68, v43, 0x3e3c28d5, v36
	v_fmamk_f32 v72, v40, 0xbeb8f4ab, v56
	v_fmac_f32_e32 v36, 0xbe3c28d5, v43
	v_fmamk_f32 v75, v38, 0x3f06c442, v65
	v_fmac_f32_e32 v56, 0x3eb8f4ab, v40
	v_add_f32_e32 v68, v0, v68
	v_fmamk_f32 v76, v37, 0xbf2c7751, v66
	v_add_f32_e32 v36, v0, v36
	v_fmac_f32_e32 v65, 0xbf06c442, v38
	v_mul_f32_e32 v69, 0x3ee437d1, v45
	v_add_f32_e32 v68, v68, v72
	v_mul_f32_e32 v73, 0xbf59a7d5, v49
	v_add_f32_e32 v36, v36, v56
	v_fmac_f32_e32 v66, 0x3f2c7751, v37
	v_mul_f32_e32 v70, 0xbe8c1d8e, v48
	v_add_f32_e32 v68, v68, v75
	v_fmamk_f32 v75, v39, 0x3f4c4adb, v67
	v_add_f32_e32 v36, v36, v65
	v_mul_f32_e32 v74, 0x3ee437d1, v51
	v_fmamk_f32 v77, v41, 0xbf65296c, v69
	v_add_f32_e32 v56, v68, v76
	v_fmamk_f32 v65, v43, 0x3f06c442, v73
	v_fmac_f32_e32 v67, 0xbf4c4adb, v39
	v_add_f32_e32 v36, v36, v66
	v_mul_f32_e32 v71, 0x3dbcf732, v55
	v_add_f32_e32 v56, v75, v56
	v_mul_f32_e32 v72, 0x3dbcf732, v50
	v_fmamk_f32 v68, v42, 0x3f763a35, v70
	v_fmamk_f32 v75, v40, 0xbf65296c, v74
	v_add_f32_e32 v65, v0, v65
	v_add_f32_e32 v56, v77, v56
	v_fmac_f32_e32 v69, 0x3f65296c, v41
	v_add_f32_e32 v36, v67, v36
	v_fmamk_f32 v76, v47, 0xbf7ee86f, v71
	v_fmamk_f32 v66, v38, 0x3f7ee86f, v72
	v_add_f32_e32 v56, v68, v56
	v_add_f32_e32 v65, v65, v75
	v_mul_f32_e32 v67, 0xbf1a4643, v46
	v_fmac_f32_e32 v70, 0xbf763a35, v42
	v_add_f32_e32 v68, v69, v36
	v_add_f32_e32 v36, v76, v56
	;; [unrolled: 1-line block ×3, first 2 shown]
	v_fmamk_f32 v65, v37, 0xbf4c4adb, v67
	v_mul_f32_e32 v66, 0x3f6eb680, v44
	v_add_f32_e32 v68, v70, v68
	v_fmac_f32_e32 v73, 0xbf06c442, v43
	v_fmac_f32_e32 v71, 0x3f7ee86f, v47
	v_add_f32_e32 v65, v56, v65
	v_fmamk_f32 v69, v39, 0x3eb8f4ab, v66
	v_mul_f32_e32 v70, 0xbf7ba420, v45
	v_add_f32_e32 v73, v0, v73
	v_fmac_f32_e32 v74, 0x3f65296c, v40
	v_add_f32_e32 v56, v71, v68
	v_mul_f32_e32 v68, 0xbf1a4643, v49
	v_add_f32_e32 v65, v69, v65
	v_fmamk_f32 v69, v41, 0x3e3c28d5, v70
	v_add_f32_e32 v71, v73, v74
	v_fmac_f32_e32 v72, 0xbf7ee86f, v38
	v_fmamk_f32 v74, v43, 0x3f4c4adb, v68
	v_mul_f32_e32 v75, 0xbe8c1d8e, v51
	v_add_f32_e32 v65, v69, v65
	v_fmac_f32_e32 v67, 0x3f4c4adb, v37
	v_add_f32_e32 v69, v71, v72
	v_add_f32_e32 v71, v0, v74
	v_fmamk_f32 v72, v40, 0xbf763a35, v75
	v_mul_f32_e32 v74, 0x3f6eb680, v50
	v_fmac_f32_e32 v66, 0xbeb8f4ab, v39
	v_add_f32_e32 v67, v69, v67
	v_mul_f32_e32 v73, 0x3f3d2fb0, v48
	v_add_f32_e32 v69, v71, v72
	v_fmamk_f32 v71, v38, 0x3eb8f4ab, v74
	v_mul_f32_e32 v72, 0xbf59a7d5, v46
	v_mul_f32_e32 v78, 0x3dbcf732, v44
	v_add_f32_e32 v66, v66, v67
	v_fmac_f32_e32 v70, 0xbe3c28d5, v41
	v_add_f32_e32 v69, v69, v71
	v_fmamk_f32 v71, v37, 0x3f06c442, v72
	v_fmamk_f32 v76, v42, 0xbf2c7751, v73
	v_mul_f32_e32 v77, 0xbe8c1d8e, v55
	v_add_f32_e32 v66, v70, v66
	v_fmac_f32_e32 v68, 0xbf4c4adb, v43
	v_add_f32_e32 v67, v69, v71
	v_fmamk_f32 v69, v39, 0xbf7ee86f, v78
	v_mul_f32_e32 v71, 0x3f3d2fb0, v45
	v_fmac_f32_e32 v73, 0x3f2c7751, v42
	v_add_f32_e32 v65, v76, v65
	v_fmamk_f32 v76, v47, 0x3f763a35, v77
	v_add_f32_e32 v67, v69, v67
	v_fmamk_f32 v69, v41, 0x3f2c7751, v71
	v_mul_f32_e32 v70, 0xbf7ba420, v48
	v_add_f32_e32 v68, v0, v68
	v_fmac_f32_e32 v75, 0x3f763a35, v40
	v_add_f32_e32 v66, v73, v66
	v_mul_f32_e32 v73, 0xbe8c1d8e, v49
	v_add_f32_e32 v65, v76, v65
	v_add_f32_e32 v67, v69, v67
	v_fmamk_f32 v69, v42, 0x3e3c28d5, v70
	v_mul_f32_e32 v76, 0x3ee437d1, v55
	v_add_f32_e32 v68, v68, v75
	v_fmac_f32_e32 v74, 0xbeb8f4ab, v38
	v_fmamk_f32 v75, v43, 0x3f763a35, v73
	v_mul_f32_e32 v79, 0xbf59a7d5, v51
	v_fmac_f32_e32 v77, 0xbf763a35, v47
	v_add_f32_e32 v69, v69, v67
	v_fmamk_f32 v80, v47, 0xbf65296c, v76
	v_add_f32_e32 v68, v68, v74
	v_add_f32_e32 v74, v0, v75
	v_fmamk_f32 v75, v40, 0xbf06c442, v79
	v_mul_f32_e32 v81, 0x3f3d2fb0, v50
	v_fmac_f32_e32 v72, 0xbf06c442, v37
	v_add_f32_e32 v67, v77, v66
	v_add_f32_e32 v66, v80, v69
	v_add_f32_e32 v69, v74, v75
	v_fmamk_f32 v74, v38, 0xbf2c7751, v81
	v_mul_f32_e32 v75, 0x3ee437d1, v46
	v_fmac_f32_e32 v73, 0xbf763a35, v43
	v_add_f32_e32 v68, v68, v72
	v_fmac_f32_e32 v78, 0x3f7ee86f, v39
	v_add_f32_e32 v69, v69, v74
	v_fmamk_f32 v72, v37, 0x3f65296c, v75
	v_mul_f32_e32 v74, 0xbf7ba420, v44
	v_add_f32_e32 v73, v0, v73
	v_fmac_f32_e32 v79, 0x3f06c442, v40
	v_add_f32_e32 v68, v78, v68
	v_fmac_f32_e32 v71, 0xbf2c7751, v41
	v_add_f32_e32 v69, v69, v72
	v_fmamk_f32 v72, v39, 0x3e3c28d5, v74
	v_add_f32_e32 v73, v73, v79
	v_mul_f32_e32 v77, 0x3dbcf732, v45
	v_fmac_f32_e32 v81, 0x3f2c7751, v38
	v_mul_f32_e32 v78, 0x3dbcf732, v49
	v_add_f32_e32 v68, v71, v68
	v_fmac_f32_e32 v70, 0xbe3c28d5, v42
	v_add_f32_e32 v69, v72, v69
	v_fmamk_f32 v71, v41, 0xbf7ee86f, v77
	v_add_f32_e32 v72, v73, v81
	v_mul_f32_e32 v73, 0x3f6eb680, v48
	v_fmac_f32_e32 v75, 0xbf65296c, v37
	v_fmamk_f32 v79, v43, 0x3f7ee86f, v78
	v_mul_f32_e32 v80, 0xbf7ba420, v51
	v_add_f32_e32 v68, v70, v68
	v_add_f32_e32 v69, v71, v69
	v_fmamk_f32 v70, v42, 0x3eb8f4ab, v73
	v_add_f32_e32 v72, v72, v75
	v_fmac_f32_e32 v74, 0xbe3c28d5, v39
	v_add_f32_e32 v75, v0, v79
	v_fmamk_f32 v79, v40, 0x3e3c28d5, v80
	v_mul_f32_e32 v81, 0xbe8c1d8e, v50
	v_add_f32_e32 v69, v70, v69
	v_add_f32_e32 v70, v74, v72
	v_fmac_f32_e32 v77, 0x3f7ee86f, v41
	v_add_f32_e32 v72, v75, v79
	v_fmamk_f32 v74, v38, 0xbf763a35, v81
	v_mul_f32_e32 v75, 0x3f6eb680, v46
	v_mul_f32_e32 v71, 0xbf1a4643, v55
	v_add_f32_e32 v70, v77, v70
	v_fmac_f32_e32 v73, 0xbeb8f4ab, v42
	v_add_f32_e32 v72, v72, v74
	v_fmamk_f32 v74, v37, 0xbeb8f4ab, v75
	v_mul_f32_e32 v77, 0x3ee437d1, v44
	v_fmac_f32_e32 v76, 0x3f65296c, v47
	v_fmamk_f32 v79, v47, 0x3f4c4adb, v71
	v_add_f32_e32 v70, v73, v70
	v_fmac_f32_e32 v71, 0xbf4c4adb, v47
	v_add_f32_e32 v72, v72, v74
	v_fmamk_f32 v73, v39, 0x3f65296c, v77
	v_mul_f32_e32 v74, 0xbf59a7d5, v45
	v_fmac_f32_e32 v78, 0xbf7ee86f, v43
	v_add_f32_e32 v68, v76, v68
	v_add_f32_e32 v70, v71, v70
	v_add_f32_e32 v71, v73, v72
	v_fmamk_f32 v72, v41, 0x3f06c442, v74
	v_mul_f32_e32 v73, 0xbf1a4643, v48
	v_mul_f32_e32 v76, 0x3ee437d1, v49
	v_add_f32_e32 v78, v0, v78
	v_fmac_f32_e32 v80, 0xbe3c28d5, v40
	v_add_f32_e32 v71, v72, v71
	v_mul_f32_e32 v72, 0xbf1a4643, v51
	v_add_f32_e32 v62, v62, v76
	v_fmamk_f32 v76, v42, 0xbf4c4adb, v73
	v_add_f32_e32 v78, v78, v80
	v_fmac_f32_e32 v81, 0x3f763a35, v38
	v_add_f32_e32 v64, v64, v72
	v_add_f32_e32 v62, v0, v62
	;; [unrolled: 1-line block ×3, first 2 shown]
	v_mul_f32_e32 v72, 0xbf7ba420, v50
	v_add_f32_e32 v76, v78, v81
	v_fmac_f32_e32 v75, 0x3eb8f4ab, v37
	v_add_f32_e32 v62, v62, v64
	v_mul_f32_e32 v64, 0xbe8c1d8e, v46
	v_add_f32_e32 v63, v63, v72
	v_fmac_f32_e32 v77, 0xbf65296c, v39
	v_add_f32_e32 v75, v76, v75
	v_mul_f32_e32 v72, 0x3f3d2fb0, v44
	v_add_f32_e32 v60, v60, v64
	v_add_f32_e32 v62, v62, v63
	v_mul_f32_e32 v64, 0x3f3d2fb0, v55
	v_add_f32_e32 v75, v77, v75
	v_fmac_f32_e32 v74, 0xbf06c442, v41
	v_mul_f32_e32 v76, 0x3f6eb680, v45
	v_add_f32_e32 v60, v62, v60
	v_add_f32_e32 v61, v61, v72
	v_fmamk_f32 v62, v47, 0xbf2c7751, v64
	v_add_f32_e32 v72, v74, v75
	v_mul_f32_e32 v74, 0x3f3d2fb0, v49
	v_mul_f32_e32 v63, 0x3dbcf732, v48
	v_add_f32_e32 v60, v61, v60
	v_add_f32_e32 v58, v58, v76
	;; [unrolled: 1-line block ×3, first 2 shown]
	v_fmamk_f32 v62, v43, 0x3f2c7751, v74
	v_mul_f32_e32 v71, 0x3dbcf732, v51
	v_add_f32_e32 v59, v59, v63
	v_add_f32_e32 v58, v58, v60
	v_mul_f32_e32 v63, 0xbf1a4643, v50
	v_add_f32_e32 v60, v0, v62
	v_fmamk_f32 v62, v40, 0x3f7ee86f, v71
	v_mul_f32_e32 v77, 0xbf59a7d5, v55
	v_add_f32_e32 v58, v59, v58
	v_fmac_f32_e32 v73, 0x3f4c4adb, v42
	v_fmac_f32_e32 v74, 0xbf2c7751, v43
	v_add_f32_e32 v59, v60, v62
	v_fmamk_f32 v60, v38, 0x3f4c4adb, v63
	v_mul_f32_e32 v62, 0xbf7ba420, v46
	v_add_f32_e32 v57, v57, v77
	v_add_f32_e32 v72, v73, v72
	;; [unrolled: 1-line block ×4, first 2 shown]
	v_fmamk_f32 v60, v37, 0x3e3c28d5, v62
	v_fmac_f32_e32 v71, 0xbf7ee86f, v40
	v_add_f32_e32 v57, v57, v58
	v_mul_f32_e32 v58, 0xbf59a7d5, v44
	v_fmac_f32_e32 v63, 0xbf4c4adb, v38
	v_add_f32_e32 v59, v59, v60
	v_add_f32_e32 v60, v0, v10
	;; [unrolled: 1-line block ×3, first 2 shown]
	v_fmamk_f32 v73, v39, 0xbf06c442, v58
	v_mul_f32_e32 v74, 0xbe8c1d8e, v45
	v_fmac_f32_e32 v62, 0xbe3c28d5, v37
	v_add_f32_e32 v60, v60, v6
	v_add_f32_e32 v63, v71, v63
	;; [unrolled: 1-line block ×3, first 2 shown]
	v_fmamk_f32 v71, v41, 0xbf763a35, v74
	v_mul_f32_e32 v73, 0x3ee437d1, v48
	v_add_f32_e32 v60, v60, v2
	v_add_f32_e32 v62, v63, v62
	v_mul_f32_e32 v49, 0x3f6eb680, v49
	v_add_f32_e32 v59, v71, v59
	v_fmamk_f32 v63, v42, 0xbf65296c, v73
	v_add_f32_e32 v60, v60, v16
	v_mul_f32_e32 v51, 0x3f3d2fb0, v51
	v_mul_f32_e32 v50, 0x3ee437d1, v50
	;; [unrolled: 1-line block ×3, first 2 shown]
	v_add_f32_e32 v59, v63, v59
	v_add_f32_e32 v60, v60, v14
	v_fmamk_f32 v63, v43, 0x3eb8f4ab, v49
	v_fmac_f32_e32 v49, 0xbeb8f4ab, v43
	v_fmamk_f32 v43, v40, 0x3f2c7751, v51
	v_fmac_f32_e32 v51, 0xbf2c7751, v40
	v_add_f32_e32 v60, v60, v8
	v_fmamk_f32 v40, v38, 0x3f65296c, v50
	v_add_f32_e32 v49, v0, v49
	v_add_f32_e32 v0, v0, v63
	v_fmac_f32_e32 v50, 0xbf65296c, v38
	v_add_f32_e32 v60, v60, v4
	v_mul_f32_e32 v44, 0xbe8c1d8e, v44
	v_add_f32_e32 v49, v49, v51
	v_add_f32_e32 v0, v0, v43
	v_fmamk_f32 v43, v37, 0x3f7ee86f, v46
	v_add_f32_e32 v60, v60, v24
	v_fmac_f32_e32 v46, 0xbf7ee86f, v37
	v_add_f32_e32 v49, v49, v50
	v_add_f32_e32 v0, v0, v40
	v_mul_f32_e32 v40, 0xbf1a4643, v45
	v_add_f32_e32 v38, v60, v22
	v_fmac_f32_e32 v58, 0x3f06c442, v39
	v_add_f32_e32 v45, v49, v46
	v_add_f32_e32 v0, v0, v43
	v_mul_f32_e32 v43, 0xbf59a7d5, v48
	v_add_f32_e32 v37, v38, v20
	v_fmamk_f32 v38, v39, 0x3f763a35, v44
	v_fmac_f32_e32 v44, 0xbf763a35, v39
	v_fmamk_f32 v39, v41, 0x3f4c4adb, v40
	v_fmac_f32_e32 v40, 0xbf4c4adb, v41
	v_add_f32_e32 v37, v37, v18
	v_add_f32_e32 v58, v58, v62
	;; [unrolled: 1-line block ×3, first 2 shown]
	v_fmac_f32_e32 v74, 0x3f763a35, v41
	v_add_f32_e32 v0, v38, v0
	v_add_f32_e32 v37, v37, v32
	v_fmamk_f32 v38, v42, 0x3f06c442, v43
	v_mul_f32_e32 v41, 0xbf7ba420, v55
	v_add_f32_e32 v40, v40, v44
	v_fmac_f32_e32 v43, 0xbf06c442, v42
	v_add_f32_e32 v37, v37, v34
	v_mul_f32_e32 v71, 0x3f6eb680, v55
	v_add_f32_e32 v58, v74, v58
	v_fmac_f32_e32 v73, 0x3f65296c, v42
	v_add_f32_e32 v0, v39, v0
	v_add_f32_e32 v37, v30, v37
	v_fmamk_f32 v39, v47, 0x3e3c28d5, v41
	v_add_f32_e32 v40, v43, v40
	v_fmac_f32_e32 v41, 0xbe3c28d5, v47
	v_mul_u32_u24_e32 v43, 0x44, v52
	v_add_f32_e32 v37, v28, v37
	v_fmamk_f32 v62, v47, 0xbeb8f4ab, v71
	v_add_f32_e32 v42, v73, v58
	v_fmac_f32_e32 v71, 0x3eb8f4ab, v47
	v_fmac_f32_e32 v64, 0x3f2c7751, v47
	v_add_f32_e32 v0, v38, v0
	v_add_f32_e32 v38, v41, v40
	v_add_f32_e32 v37, v26, v37
	v_add3_u32 v40, 0, v43, v53
	v_add_f32_e32 v41, v71, v42
	v_add_f32_e32 v42, v64, v72
	;; [unrolled: 1-line block ×5, first 2 shown]
	ds_write2_b32 v40, v37, v38 offset1:1
	ds_write2_b32 v40, v41, v57 offset0:2 offset1:3
	ds_write2_b32 v40, v42, v70 offset0:4 offset1:5
	;; [unrolled: 1-line block ×7, first 2 shown]
	ds_write_b32 v40, v0 offset:64
.LBB0_12:
	s_or_b32 exec_lo, exec_lo, s1
	v_sub_f32_e32 v68, v10, v26
	v_add_f32_e32 v65, v11, v27
	v_sub_f32_e32 v64, v6, v28
	v_add_f32_e32 v60, v7, v29
	v_sub_f32_e32 v58, v2, v30
	v_mul_f32_e32 v67, 0xbf65296c, v68
	v_add_f32_e32 v57, v3, v31
	v_mul_f32_e32 v66, 0xbf4c4adb, v64
	v_sub_f32_e32 v49, v16, v34
	v_mul_f32_e32 v59, 0x3e3c28d5, v58
	v_fmamk_f32 v0, v65, 0x3ee437d1, v67
	v_sub_f32_e32 v28, v8, v18
	v_fmamk_f32 v2, v60, 0xbf1a4643, v66
	v_lshlrev_b32_e32 v8, 2, v52
	v_fmamk_f32 v6, v57, 0xbf7ba420, v59
	v_add_f32_e32 v0, v1, v0
	v_add_f32_e32 v48, v17, v35
	v_sub_f32_e32 v32, v14, v32
	v_mul_f32_e32 v51, 0x3f763a35, v49
	v_add_f32_e32 v30, v15, v33
	v_add_f32_e32 v0, v0, v2
	v_sub_f32_e32 v20, v4, v20
	v_mul_f32_e32 v50, 0x3f2c7751, v32
	v_fmamk_f32 v2, v48, 0xbe8c1d8e, v51
	v_add3_u32 v55, 0, v53, v8
	v_add_f32_e32 v6, v0, v6
	v_add_nc_u32_e32 v0, 0, v8
	v_fmamk_f32 v4, v30, 0x3f3d2fb0, v50
	v_add_f32_e32 v26, v9, v19
	v_mul_f32_e32 v34, 0xbeb8f4ab, v28
	v_add_f32_e32 v6, v6, v2
	v_add_nc_u32_e32 v56, v0, v53
	v_sub_f32_e32 v2, v24, v22
	s_waitcnt lgkmcnt(0)
	s_barrier
	v_add_f32_e32 v22, v4, v6
	v_add_nc_u32_e32 v10, 0x800, v56
	v_add_nc_u32_e32 v6, 0xa00, v56
	;; [unrolled: 1-line block ×5, first 2 shown]
	buffer_gl0_inv
	ds_read2_b32 v[36:37], v10 offset0:83 offset1:168
	ds_read2_b32 v[42:43], v56 offset0:85 offset1:170
	;; [unrolled: 1-line block ×6, first 2 shown]
	ds_read_b32 v4, v55
	ds_read_b32 v62, v56 offset:4420
	v_add_f32_e32 v18, v5, v21
	v_mul_f32_e32 v24, 0xbf7ee86f, v20
	v_fmamk_f32 v16, v26, 0x3f6eb680, v34
	s_waitcnt lgkmcnt(0)
	s_barrier
	buffer_gl0_inv
	v_fmamk_f32 v69, v18, 0x3dbcf732, v24
	v_add_f32_e32 v61, v16, v22
	v_add_f32_e32 v16, v25, v23
	v_mul_f32_e32 v22, 0xbf06c442, v2
	v_add_f32_e32 v61, v69, v61
	v_fmamk_f32 v69, v16, 0xbf59a7d5, v22
	v_add_f32_e32 v61, v69, v61
	s_and_saveexec_b32 s1, s0
	s_cbranch_execz .LBB0_14
; %bb.13:
	v_add_f32_e32 v11, v1, v11
	v_mul_f32_e32 v69, 0x3ee437d1, v65
	v_mul_f32_e32 v76, 0xbf2c7751, v68
	;; [unrolled: 1-line block ×4, first 2 shown]
	v_add_f32_e32 v11, v11, v7
	v_mul_f32_e32 v79, 0xbf06c442, v68
	v_mul_f32_e32 v80, 0xbf2c7751, v64
	;; [unrolled: 1-line block ×3, first 2 shown]
	v_sub_f32_e32 v67, v69, v67
	v_add_f32_e32 v3, v11, v3
	v_mul_f32_e32 v11, 0xbeb8f4ab, v68
	v_fma_f32 v69, 0xbe8c1d8e, v65, -v78
	v_fmac_f32_e32 v78, 0xbe8c1d8e, v65
	v_fma_f32 v84, 0xbf59a7d5, v65, -v79
	v_add_f32_e32 v3, v3, v17
	v_mul_f32_e32 v17, 0xbf4c4adb, v68
	v_mul_f32_e32 v68, 0xbe3c28d5, v68
	v_fma_f32 v83, 0x3f6eb680, v65, -v11
	v_fmac_f32_e32 v11, 0x3f6eb680, v65
	v_add_f32_e32 v3, v3, v15
	v_mul_f32_e32 v15, 0xbf7ee86f, v64
	v_fmac_f32_e32 v79, 0xbf59a7d5, v65
	v_sub_f32_e32 v66, v70, v66
	v_add_f32_e32 v67, v1, v67
	v_add_f32_e32 v3, v3, v9
	v_fma_f32 v9, 0x3f3d2fb0, v65, -v76
	v_fmac_f32_e32 v76, 0x3f3d2fb0, v65
	v_mul_f32_e32 v81, 0xbe3c28d5, v64
	v_mul_f32_e32 v82, 0x3f06c442, v64
	v_add_f32_e32 v3, v3, v5
	v_fma_f32 v5, 0x3dbcf732, v65, -v77
	v_fmac_f32_e32 v77, 0x3dbcf732, v65
	v_add_f32_e32 v9, v1, v9
	v_add_f32_e32 v11, v1, v11
	v_add_f32_e32 v3, v3, v25
	v_fma_f32 v25, 0xbf1a4643, v65, -v17
	v_fmac_f32_e32 v17, 0xbf1a4643, v65
	v_mul_f32_e32 v71, 0xbf7ba420, v57
	v_fma_f32 v70, 0xbf7ba420, v60, -v81
	v_add_f32_e32 v3, v3, v23
	v_fma_f32 v23, 0xbf7ba420, v65, -v68
	v_fmac_f32_e32 v68, 0xbf7ba420, v65
	v_fma_f32 v65, 0x3f3d2fb0, v60, -v80
	v_add_f32_e32 v17, v1, v17
	v_add_f32_e32 v3, v3, v21
	v_fma_f32 v21, 0x3dbcf732, v60, -v15
	v_fmac_f32_e32 v80, 0x3f3d2fb0, v60
	v_add_f32_e32 v25, v1, v25
	v_fmac_f32_e32 v15, 0x3dbcf732, v60
	v_add_f32_e32 v3, v3, v19
	v_add_f32_e32 v19, v1, v83
	;; [unrolled: 1-line block ×4, first 2 shown]
	v_fmac_f32_e32 v81, 0xbf7ba420, v60
	v_add_f32_e32 v3, v3, v33
	v_add_f32_e32 v19, v19, v65
	v_mul_f32_e32 v65, 0x3f65296c, v64
	v_add_f32_e32 v33, v1, v76
	v_add_f32_e32 v76, v1, v77
	;; [unrolled: 1-line block ×4, first 2 shown]
	v_fma_f32 v67, 0x3ee437d1, v60, -v65
	v_fmac_f32_e32 v65, 0x3ee437d1, v60
	v_add_f32_e32 v5, v1, v5
	v_add_f32_e32 v3, v31, v3
	;; [unrolled: 1-line block ×9, first 2 shown]
	v_fma_f32 v29, 0xbf59a7d5, v60, -v82
	v_fmac_f32_e32 v82, 0xbf59a7d5, v60
	v_add_f32_e32 v3, v27, v3
	v_mul_f32_e32 v27, 0x3f763a35, v64
	v_mul_f32_e32 v64, 0x3eb8f4ab, v64
	v_add_f32_e32 v15, v33, v15
	v_add_f32_e32 v5, v5, v70
	;; [unrolled: 1-line block ×3, first 2 shown]
	v_fma_f32 v66, 0xbe8c1d8e, v60, -v27
	v_fmac_f32_e32 v27, 0xbe8c1d8e, v60
	v_add_f32_e32 v29, v35, v29
	v_add_f32_e32 v35, v69, v82
	v_mul_f32_e32 v72, 0xbe8c1d8e, v48
	v_add_f32_e32 v25, v25, v66
	v_add_f32_e32 v17, v17, v27
	;; [unrolled: 1-line block ×3, first 2 shown]
	v_mul_f32_e32 v31, 0xbf65296c, v58
	v_fma_f32 v66, 0x3f6eb680, v60, -v64
	v_fmac_f32_e32 v64, 0x3f6eb680, v60
	v_add_f32_e32 v60, v77, v65
	v_mul_f32_e32 v65, 0xbf4c4adb, v58
	v_fma_f32 v67, 0x3ee437d1, v57, -v31
	v_fmac_f32_e32 v31, 0x3ee437d1, v57
	v_add_f32_e32 v23, v23, v66
	v_add_f32_e32 v1, v1, v64
	v_fma_f32 v64, 0xbf1a4643, v57, -v65
	v_mul_f32_e32 v66, 0x3f763a35, v58
	v_add_f32_e32 v11, v11, v31
	v_sub_f32_e32 v31, v71, v59
	v_fmac_f32_e32 v65, 0xbf1a4643, v57
	v_add_f32_e32 v9, v9, v64
	v_fma_f32 v59, 0xbe8c1d8e, v57, -v66
	v_mul_f32_e32 v64, 0x3f2c7751, v58
	v_fmac_f32_e32 v66, 0xbe8c1d8e, v57
	v_add_f32_e32 v21, v21, v31
	v_mul_f32_e32 v31, 0xbeb8f4ab, v58
	v_add_f32_e32 v15, v15, v65
	v_add_f32_e32 v5, v5, v59
	v_fma_f32 v59, 0x3f3d2fb0, v57, -v64
	v_add_f32_e32 v33, v33, v66
	v_mul_f32_e32 v65, 0xbf7ee86f, v58
	v_fma_f32 v66, 0x3f6eb680, v57, -v31
	v_fmac_f32_e32 v31, 0x3f6eb680, v57
	v_fmac_f32_e32 v64, 0x3f3d2fb0, v57
	v_add_f32_e32 v29, v29, v59
	v_fma_f32 v59, 0x3dbcf732, v57, -v65
	v_mul_f32_e32 v58, 0xbf06c442, v58
	v_add_f32_e32 v17, v17, v31
	v_fmac_f32_e32 v65, 0x3dbcf732, v57
	v_mul_f32_e32 v31, 0xbf7ee86f, v49
	v_add_f32_e32 v35, v35, v64
	v_add_f32_e32 v27, v27, v59
	v_fma_f32 v59, 0xbf59a7d5, v57, -v58
	v_fmac_f32_e32 v58, 0xbf59a7d5, v57
	v_add_f32_e32 v57, v60, v65
	v_mul_f32_e32 v60, 0xbe3c28d5, v49
	v_fma_f32 v64, 0x3dbcf732, v48, -v31
	v_fmac_f32_e32 v31, 0x3dbcf732, v48
	v_add_f32_e32 v23, v23, v59
	v_add_f32_e32 v1, v1, v58
	v_fma_f32 v58, 0xbf7ba420, v48, -v60
	v_mul_f32_e32 v59, 0x3eb8f4ab, v49
	v_add_f32_e32 v11, v11, v31
	v_sub_f32_e32 v31, v72, v51
	v_fmac_f32_e32 v60, 0xbf7ba420, v48
	v_add_f32_e32 v9, v9, v58
	v_fma_f32 v51, 0x3f6eb680, v48, -v59
	v_mul_f32_e32 v58, 0xbf65296c, v49
	v_fmac_f32_e32 v59, 0x3f6eb680, v48
	v_add_f32_e32 v21, v21, v31
	v_mul_f32_e32 v31, 0xbf06c442, v49
	v_add_f32_e32 v15, v15, v60
	v_add_f32_e32 v5, v5, v51
	v_fma_f32 v51, 0x3ee437d1, v48, -v58
	v_add_f32_e32 v33, v33, v59
	v_mul_f32_e32 v59, 0x3f4c4adb, v49
	v_fma_f32 v60, 0xbf59a7d5, v48, -v31
	v_fmac_f32_e32 v31, 0xbf59a7d5, v48
	v_fmac_f32_e32 v58, 0x3ee437d1, v48
	v_add_f32_e32 v29, v29, v51
	v_fma_f32 v51, 0xbf1a4643, v48, -v59
	v_mul_f32_e32 v49, 0x3f2c7751, v49
	v_add_f32_e32 v17, v17, v31
	v_fmac_f32_e32 v59, 0xbf1a4643, v48
	v_mul_f32_e32 v31, 0xbf763a35, v32
	v_mul_f32_e32 v73, 0x3f3d2fb0, v30
	v_add_f32_e32 v35, v35, v58
	v_add_f32_e32 v27, v27, v51
	v_fma_f32 v51, 0x3f3d2fb0, v48, -v49
	v_fmac_f32_e32 v49, 0x3f3d2fb0, v48
	v_add_f32_e32 v48, v57, v59
	v_mul_f32_e32 v57, 0x3f06c442, v32
	v_fma_f32 v58, 0xbe8c1d8e, v30, -v31
	v_fmac_f32_e32 v31, 0xbe8c1d8e, v30
	v_add_f32_e32 v23, v23, v51
	v_add_f32_e32 v1, v1, v49
	v_fma_f32 v49, 0xbf59a7d5, v30, -v57
	v_mul_f32_e32 v51, 0xbf65296c, v32
	v_add_f32_e32 v11, v31, v11
	v_sub_f32_e32 v31, v73, v50
	v_fmac_f32_e32 v57, 0xbf59a7d5, v30
	v_add_f32_e32 v9, v49, v9
	v_fma_f32 v49, 0x3ee437d1, v30, -v51
	v_mul_f32_e32 v50, 0xbe3c28d5, v32
	v_fmac_f32_e32 v51, 0x3ee437d1, v30
	v_add_f32_e32 v21, v31, v21
	v_mul_f32_e32 v31, 0x3f7ee86f, v32
	v_add_f32_e32 v15, v57, v15
	v_add_f32_e32 v5, v49, v5
	v_fma_f32 v49, 0xbf7ba420, v30, -v50
	v_add_f32_e32 v33, v51, v33
	v_mul_f32_e32 v51, 0xbeb8f4ab, v32
	v_fma_f32 v57, 0x3dbcf732, v30, -v31
	v_fmac_f32_e32 v31, 0x3dbcf732, v30
	v_fmac_f32_e32 v50, 0xbf7ba420, v30
	v_add_f32_e32 v29, v49, v29
	v_fma_f32 v49, 0x3f6eb680, v30, -v51
	v_mul_f32_e32 v32, 0xbf4c4adb, v32
	v_add_f32_e32 v17, v31, v17
	v_fmac_f32_e32 v51, 0x3f6eb680, v30
	v_mul_f32_e32 v31, 0xbf4c4adb, v28
	v_mul_f32_e32 v74, 0x3f6eb680, v26
	v_add_f32_e32 v35, v50, v35
	v_add_f32_e32 v27, v49, v27
	v_fma_f32 v49, 0xbf1a4643, v30, -v32
	v_fmac_f32_e32 v32, 0xbf1a4643, v30
	v_add_f32_e32 v30, v51, v48
	v_mul_f32_e32 v48, 0x3f763a35, v28
	v_fma_f32 v50, 0xbf1a4643, v26, -v31
	v_fmac_f32_e32 v31, 0xbf1a4643, v26
	v_add_f32_e32 v23, v49, v23
	v_add_f32_e32 v1, v32, v1
	v_fma_f32 v32, 0xbe8c1d8e, v26, -v48
	v_mul_f32_e32 v49, 0xbf06c442, v28
	v_add_f32_e32 v11, v31, v11
	v_sub_f32_e32 v31, v74, v34
	v_add_f32_e32 v19, v19, v67
	v_fmac_f32_e32 v48, 0xbe8c1d8e, v26
	v_add_f32_e32 v9, v32, v9
	v_fma_f32 v32, 0xbf59a7d5, v26, -v49
	v_mul_f32_e32 v34, 0x3f7ee86f, v28
	v_fmac_f32_e32 v49, 0xbf59a7d5, v26
	v_add_f32_e32 v21, v31, v21
	v_mul_f32_e32 v31, 0xbf2c7751, v28
	v_add_f32_e32 v19, v19, v64
	v_add_f32_e32 v15, v48, v15
	;; [unrolled: 1-line block ×3, first 2 shown]
	v_fma_f32 v32, 0x3dbcf732, v26, -v34
	v_add_f32_e32 v33, v49, v33
	v_fmac_f32_e32 v34, 0x3dbcf732, v26
	v_fma_f32 v48, 0x3f3d2fb0, v26, -v31
	v_mul_f32_e32 v49, 0xbe3c28d5, v28
	v_fmac_f32_e32 v31, 0x3f3d2fb0, v26
	v_add_f32_e32 v19, v58, v19
	v_add_f32_e32 v29, v32, v29
	;; [unrolled: 1-line block ×3, first 2 shown]
	v_fma_f32 v34, 0xbf7ba420, v26, -v49
	v_mul_f32_e32 v28, 0x3f65296c, v28
	v_add_f32_e32 v17, v31, v17
	v_fmac_f32_e32 v49, 0xbf7ba420, v26
	v_mul_f32_e32 v31, 0xbf06c442, v20
	v_mul_f32_e32 v75, 0x3dbcf732, v18
	v_add_f32_e32 v19, v50, v19
	v_add_f32_e32 v27, v34, v27
	v_fma_f32 v34, 0x3ee437d1, v26, -v28
	v_fmac_f32_e32 v28, 0x3ee437d1, v26
	v_add_f32_e32 v26, v49, v30
	v_fma_f32 v30, 0xbf59a7d5, v18, -v31
	v_mul_f32_e32 v35, 0x3f65296c, v20
	v_fmac_f32_e32 v31, 0xbf59a7d5, v18
	v_add_f32_e32 v1, v28, v1
	v_sub_f32_e32 v24, v75, v24
	v_add_f32_e32 v19, v30, v19
	v_fma_f32 v28, 0x3ee437d1, v18, -v35
	v_mul_f32_e32 v30, 0x3f4c4adb, v20
	v_add_f32_e32 v11, v31, v11
	v_mul_f32_e32 v31, 0xbeb8f4ab, v20
	v_add_f32_e32 v21, v24, v21
	v_add_f32_e32 v9, v28, v9
	v_fma_f32 v28, 0xbf1a4643, v18, -v30
	v_fmac_f32_e32 v30, 0xbf1a4643, v18
	v_mul_f32_e32 v24, 0xbe3c28d5, v20
	v_add_f32_e32 v23, v34, v23
	v_mul_f32_e32 v34, 0x3f2c7751, v20
	v_add_f32_e32 v5, v28, v5
	v_fma_f32 v28, 0x3f6eb680, v18, -v31
	v_fmac_f32_e32 v31, 0x3f6eb680, v18
	v_add_f32_e32 v30, v30, v33
	v_fma_f32 v33, 0xbf7ba420, v18, -v24
	v_fmac_f32_e32 v24, 0xbf7ba420, v18
	v_add_f32_e32 v28, v28, v29
	v_add_f32_e32 v29, v31, v32
	v_fma_f32 v31, 0x3f3d2fb0, v18, -v34
	v_mul_f32_e32 v20, 0xbf763a35, v20
	v_add_f32_e32 v17, v24, v17
	v_mul_f32_e32 v24, 0xbe3c28d5, v2
	v_add_f32_e32 v25, v25, v66
	v_fmac_f32_e32 v35, 0x3ee437d1, v18
	v_fmac_f32_e32 v34, 0x3f3d2fb0, v18
	v_add_f32_e32 v27, v31, v27
	v_fma_f32 v31, 0xbe8c1d8e, v18, -v20
	v_fmac_f32_e32 v20, 0xbe8c1d8e, v18
	v_fma_f32 v18, 0xbf7ba420, v16, -v24
	v_mul_f32_e32 v32, 0x3eb8f4ab, v2
	v_mul_f32_e32 v7, 0xbf59a7d5, v16
	v_add_f32_e32 v25, v25, v60
	v_add_f32_e32 v1, v20, v1
	;; [unrolled: 1-line block ×3, first 2 shown]
	v_fma_f32 v19, 0x3f6eb680, v16, -v32
	v_mul_f32_e32 v20, 0x3f2c7751, v2
	v_sub_f32_e32 v7, v7, v22
	v_add_f32_e32 v25, v57, v25
	v_fmac_f32_e32 v24, 0xbf7ba420, v16
	v_add_f32_e32 v9, v19, v9
	v_mul_f32_e32 v19, 0xbf4c4adb, v2
	v_fma_f32 v22, 0x3f3d2fb0, v16, -v20
	v_add_f32_e32 v7, v7, v21
	v_mul_f32_e32 v21, 0x3f65296c, v2
	v_add_f32_e32 v25, v48, v25
	v_add_f32_e32 v11, v24, v11
	v_fma_f32 v24, 0xbf1a4643, v16, -v19
	v_add_f32_e32 v5, v22, v5
	v_fma_f32 v22, 0x3ee437d1, v16, -v21
	v_fmac_f32_e32 v21, 0x3ee437d1, v16
	v_add_f32_e32 v25, v33, v25
	v_add_f32_e32 v24, v24, v28
	v_mul_f32_e32 v28, 0xbf763a35, v2
	v_fmac_f32_e32 v19, 0xbf1a4643, v16
	v_mul_f32_e32 v2, 0x3f7ee86f, v2
	v_add_f32_e32 v17, v21, v17
	v_lshlrev_b32_e32 v21, 6, v52
	v_add_f32_e32 v22, v22, v25
	v_fma_f32 v25, 0xbe8c1d8e, v16, -v28
	v_add_f32_e32 v23, v31, v23
	v_add_f32_e32 v19, v19, v29
	v_fma_f32 v29, 0x3dbcf732, v16, -v2
	v_fmac_f32_e32 v2, 0x3dbcf732, v16
	v_add_f32_e32 v15, v35, v15
	v_add_f32_e32 v26, v34, v26
	v_fmac_f32_e32 v32, 0x3f6eb680, v16
	v_fmac_f32_e32 v20, 0x3f3d2fb0, v16
	;; [unrolled: 1-line block ×3, first 2 shown]
	v_add3_u32 v0, v0, v21, v53
	v_add_f32_e32 v16, v25, v27
	v_add_f32_e32 v23, v29, v23
	;; [unrolled: 1-line block ×6, first 2 shown]
	ds_write2_b32 v0, v3, v18 offset1:1
	ds_write2_b32 v0, v9, v7 offset0:2 offset1:3
	ds_write2_b32 v0, v5, v24 offset0:4 offset1:5
	ds_write2_b32 v0, v22, v16 offset0:6 offset1:7
	ds_write2_b32 v0, v23, v1 offset0:8 offset1:9
	ds_write2_b32 v0, v21, v17 offset0:10 offset1:11
	ds_write2_b32 v0, v19, v20 offset0:12 offset1:13
	ds_write2_b32 v0, v61, v15 offset0:14 offset1:15
	ds_write_b32 v0, v11 offset:64
.LBB0_14:
	s_or_b32 exec_lo, exec_lo, s1
	v_and_b32_e32 v0, 0xff, v52
	v_add_nc_u32_e32 v57, 0x55, v52
	v_add_nc_u32_e32 v58, 0xaa, v52
	;; [unrolled: 1-line block ×3, first 2 shown]
	v_mov_b32_e32 v1, 0xf0f1
	v_mul_lo_u16 v65, 0xf1, v0
	v_and_b32_e32 v0, 0xff, v57
	v_add_nc_u32_e32 v3, 0x1a9, v52
	v_add_nc_u32_e32 v60, 0x1fe, v52
	v_and_b32_e32 v11, 0xff, v58
	v_lshrrev_b16 v5, 12, v65
	v_mul_lo_u16 v64, 0xf1, v0
	v_add_nc_u32_e32 v2, 0xff, v52
	v_mul_u32_u24_sdwa v17, v59, v1 dst_sel:DWORD dst_unused:UNUSED_PAD src0_sel:WORD_0 src1_sel:DWORD
	v_mov_b32_e32 v9, 3
	v_mul_lo_u16 v0, v5, 17
	v_lshrrev_b16 v7, 12, v64
	v_mul_u32_u24_sdwa v18, v3, v1 dst_sel:DWORD dst_unused:UNUSED_PAD src0_sel:WORD_0 src1_sel:DWORD
	v_mul_u32_u24_sdwa v20, v60, v1 dst_sel:DWORD dst_unused:UNUSED_PAD src0_sel:WORD_0 src1_sel:DWORD
	v_mul_lo_u16 v66, 0xf1, v11
	v_sub_nc_u16 v15, v52, v0
	v_mul_u32_u24_sdwa v16, v2, v1 dst_sel:DWORD dst_unused:UNUSED_PAD src0_sel:WORD_0 src1_sel:DWORD
	v_lshrrev_b32_e32 v11, 20, v17
	v_mul_lo_u16 v0, v7, 17
	v_lshrrev_b32_e32 v69, 20, v18
	v_lshlrev_b32_sdwa v19, v9, v15 dst_sel:DWORD dst_unused:UNUSED_PAD src0_sel:DWORD src1_sel:BYTE_0
	v_lshrrev_b32_e32 v71, 20, v20
	v_lshrrev_b16 v72, 12, v66
	v_lshrrev_b32_e32 v16, 20, v16
	v_mul_lo_u16 v18, v11, 17
	s_waitcnt lgkmcnt(0)
	s_barrier
	buffer_gl0_inv
	v_sub_nc_u16 v70, v57, v0
	global_load_dwordx2 v[0:1], v19, s[8:9]
	v_mul_lo_u16 v19, v69, 17
	v_mul_lo_u16 v20, v71, 17
	;; [unrolled: 1-line block ×4, first 2 shown]
	v_sub_nc_u16 v73, v59, v18
	v_sub_nc_u16 v74, v3, v19
	;; [unrolled: 1-line block ×5, first 2 shown]
	v_lshlrev_b32_sdwa v2, v9, v73 dst_sel:DWORD dst_unused:UNUSED_PAD src0_sel:DWORD src1_sel:WORD_0
	v_lshlrev_b32_sdwa v3, v9, v74 dst_sel:DWORD dst_unused:UNUSED_PAD src0_sel:DWORD src1_sel:WORD_0
	;; [unrolled: 1-line block ×3, first 2 shown]
	v_lshlrev_b32_sdwa v17, v9, v70 dst_sel:DWORD dst_unused:UNUSED_PAD src0_sel:DWORD src1_sel:BYTE_0
	v_lshlrev_b32_sdwa v21, v9, v76 dst_sel:DWORD dst_unused:UNUSED_PAD src0_sel:DWORD src1_sel:BYTE_0
	v_lshlrev_b32_sdwa v9, v9, v77 dst_sel:DWORD dst_unused:UNUSED_PAD src0_sel:DWORD src1_sel:WORD_0
	s_clause 0x5
	global_load_dwordx2 v[18:19], v2, s[8:9]
	global_load_dwordx2 v[24:25], v3, s[8:9]
	;; [unrolled: 1-line block ×6, first 2 shown]
	ds_read2_b32 v[48:49], v10 offset0:83 offset1:168
	ds_read2_b32 v[2:3], v56 offset0:85 offset1:170
	;; [unrolled: 1-line block ×6, first 2 shown]
	ds_read_b32 v67, v55
	ds_read_b32 v68, v56 offset:4420
	v_mov_b32_e32 v6, 2
	v_and_b32_e32 v5, 0xffff, v5
	v_and_b32_e32 v7, 0xffff, v7
	v_mad_u32_u24 v8, 0x88, v16, 0
	v_and_b32_e32 v16, 0xffff, v72
	v_lshlrev_b32_sdwa v15, v6, v15 dst_sel:DWORD dst_unused:UNUSED_PAD src0_sel:DWORD src1_sel:BYTE_0
	v_mad_u32_u24 v5, 0x88, v5, 0
	v_mad_u32_u24 v9, 0x88, v11, 0
	;; [unrolled: 1-line block ×5, first 2 shown]
	v_lshlrev_b32_sdwa v71, v6, v77 dst_sel:DWORD dst_unused:UNUSED_PAD src0_sel:DWORD src1_sel:WORD_0
	v_lshlrev_b32_sdwa v72, v6, v73 dst_sel:DWORD dst_unused:UNUSED_PAD src0_sel:DWORD src1_sel:WORD_0
	;; [unrolled: 1-line block ×4, first 2 shown]
	v_add3_u32 v69, v5, v15, v53
	v_lshlrev_b32_sdwa v5, v6, v70 dst_sel:DWORD dst_unused:UNUSED_PAD src0_sel:DWORD src1_sel:BYTE_0
	v_mad_u32_u24 v16, 0x88, v16, 0
	v_lshlrev_b32_sdwa v6, v6, v76 dst_sel:DWORD dst_unused:UNUSED_PAD src0_sel:DWORD src1_sel:BYTE_0
	v_add3_u32 v70, v8, v71, v53
	v_add3_u32 v71, v9, v72, v53
	;; [unrolled: 1-line block ×6, first 2 shown]
	s_waitcnt vmcnt(0) lgkmcnt(0)
	s_barrier
	buffer_gl0_inv
	v_cmp_gt_u32_e64 s0, 0x44, v52
	v_mul_f32_e32 v5, v48, v1
	v_fmac_f32_e32 v5, v36, v0
	v_sub_f32_e32 v17, v4, v5
	v_mul_f32_e32 v6, v28, v19
	v_mul_f32_e32 v7, v29, v25
	;; [unrolled: 1-line block ×6, first 2 shown]
	v_fmac_f32_e32 v6, v38, v18
	v_fmac_f32_e32 v7, v39, v24
	;; [unrolled: 1-line block ×6, first 2 shown]
	v_sub_f32_e32 v6, v45, v6
	v_sub_f32_e32 v11, v42, v11
	v_sub_f32_e32 v15, v43, v15
	v_sub_f32_e32 v16, v44, v16
	v_sub_f32_e32 v5, v46, v7
	v_sub_f32_e32 v9, v47, v8
	v_fma_f32 v7, v4, 2.0, -v17
	v_fma_f32 v42, v42, 2.0, -v11
	;; [unrolled: 1-line block ×7, first 2 shown]
	ds_write2_b32 v69, v7, v17 offset1:17
	ds_write2_b32 v74, v42, v11 offset1:17
	;; [unrolled: 1-line block ×7, first 2 shown]
	s_waitcnt lgkmcnt(0)
	s_barrier
	buffer_gl0_inv
	ds_read2_b32 v[6:7], v56 offset0:85 offset1:238
	ds_read2_b32 v[16:17], v14 offset0:67 offset1:220
	;; [unrolled: 1-line block ×4, first 2 shown]
	ds_read_b32 v42, v55
	ds_read_b32 v43, v56 offset:4148
	s_and_saveexec_b32 s1, s0
	s_cbranch_execz .LBB0_16
; %bb.15:
	v_add_nc_u32_e32 v4, 0x280, v56
	v_add_nc_u32_e32 v8, 0xa00, v56
	ds_read2_b32 v[4:5], v4 offset0:10 offset1:248
	ds_read2_b32 v[8:9], v8 offset0:6 offset1:244
	ds_read_b32 v54, v56 offset:4488
.LBB0_16:
	s_or_b32 exec_lo, exec_lo, s1
	v_mul_f32_e32 v1, v36, v1
	v_mul_f32_e32 v31, v37, v31
	;; [unrolled: 1-line block ×5, first 2 shown]
	v_fma_f32 v0, v48, v0, -v1
	v_fma_f32 v1, v49, v30, -v31
	v_mul_f32_e32 v25, v39, v25
	v_mul_f32_e32 v27, v62, v27
	v_fma_f32 v30, v50, v32, -v33
	v_fma_f32 v31, v51, v34, -v35
	v_sub_f32_e32 v32, v67, v0
	v_fma_f32 v0, v28, v18, -v19
	v_sub_f32_e32 v33, v2, v1
	v_fma_f32 v1, v29, v24, -v25
	v_fma_f32 v18, v68, v26, -v27
	v_sub_f32_e32 v25, v3, v30
	v_sub_f32_e32 v26, v20, v31
	;; [unrolled: 1-line block ×3, first 2 shown]
	v_fma_f32 v24, v67, 2.0, -v32
	v_sub_f32_e32 v1, v22, v1
	v_sub_f32_e32 v19, v23, v18
	v_fma_f32 v2, v2, 2.0, -v33
	v_fma_f32 v3, v3, 2.0, -v25
	;; [unrolled: 1-line block ×6, first 2 shown]
	s_waitcnt lgkmcnt(0)
	s_barrier
	buffer_gl0_inv
	ds_write2_b32 v69, v24, v32 offset1:17
	ds_write2_b32 v74, v2, v33 offset1:17
	;; [unrolled: 1-line block ×7, first 2 shown]
	v_add_nc_u32_e32 v20, 0x400, v56
	v_add_nc_u32_e32 v21, 0x800, v56
	;; [unrolled: 1-line block ×3, first 2 shown]
	s_waitcnt lgkmcnt(0)
	s_barrier
	buffer_gl0_inv
	ds_read2_b32 v[2:3], v56 offset0:85 offset1:238
	ds_read2_b32 v[24:25], v20 offset0:67 offset1:220
	;; [unrolled: 1-line block ×4, first 2 shown]
	ds_read_b32 v28, v55
	ds_read_b32 v26, v56 offset:4148
	s_and_saveexec_b32 s1, s0
	s_cbranch_execz .LBB0_18
; %bb.17:
	v_add_nc_u32_e32 v0, 0x280, v56
	v_add_nc_u32_e32 v18, 0xa00, v56
	ds_read2_b32 v[0:1], v0 offset0:10 offset1:248
	ds_read2_b32 v[18:19], v18 offset0:6 offset1:244
	ds_read_b32 v61, v56 offset:4488
.LBB0_18:
	s_or_b32 exec_lo, exec_lo, s1
	v_lshrrev_b16 v27, 13, v65
	v_lshrrev_b16 v30, 13, v64
	;; [unrolled: 1-line block ×3, first 2 shown]
	v_mov_b32_e32 v31, 5
	v_mov_b32_e32 v46, 2
	v_mul_lo_u16 v29, v27, 34
	v_and_b32_e32 v27, 0xffff, v27
	v_sub_nc_u16 v32, v52, v29
	v_mul_lo_u16 v29, v30, 34
	v_mad_u32_u24 v27, 0x2a8, v27, 0
	v_lshlrev_b32_sdwa v33, v31, v32 dst_sel:DWORD dst_unused:UNUSED_PAD src0_sel:DWORD src1_sel:BYTE_0
	v_sub_nc_u16 v35, v57, v29
	v_mul_lo_u16 v29, v34, 34
	v_lshlrev_b32_sdwa v32, v46, v32 dst_sel:DWORD dst_unused:UNUSED_PAD src0_sel:DWORD src1_sel:BYTE_0
	s_clause 0x1
	global_load_dwordx4 v[48:51], v33, s[8:9] offset:136
	global_load_dwordx4 v[62:65], v33, s[8:9] offset:152
	v_sub_nc_u16 v29, v58, v29
	v_lshlrev_b32_sdwa v36, v31, v35 dst_sel:DWORD dst_unused:UNUSED_PAD src0_sel:DWORD src1_sel:BYTE_0
	v_lshlrev_b32_sdwa v33, v46, v35 dst_sel:DWORD dst_unused:UNUSED_PAD src0_sel:DWORD src1_sel:BYTE_0
	v_add3_u32 v32, v27, v32, v53
	v_lshlrev_b32_sdwa v31, v31, v29 dst_sel:DWORD dst_unused:UNUSED_PAD src0_sel:DWORD src1_sel:BYTE_0
	s_clause 0x3
	global_load_dwordx4 v[66:69], v36, s[8:9] offset:136
	global_load_dwordx4 v[70:73], v36, s[8:9] offset:152
	;; [unrolled: 1-line block ×4, first 2 shown]
	v_and_b32_e32 v31, 0xffff, v30
	v_and_b32_e32 v30, 0xffff, v34
	s_waitcnt vmcnt(0) lgkmcnt(0)
	s_barrier
	buffer_gl0_inv
	v_mad_u32_u24 v31, 0x2a8, v31, 0
	v_add3_u32 v31, v31, v33, v53
	v_mul_f32_e32 v44, v25, v51
	v_mul_f32_e32 v45, v23, v63
	;; [unrolled: 1-line block ×13, first 2 shown]
	v_fmac_f32_e32 v44, v17, v50
	v_fmac_f32_e32 v45, v15, v62
	v_mul_f32_e32 v65, v16, v67
	v_mul_f32_e32 v67, v14, v69
	v_fmac_f32_e32 v41, v7, v48
	v_fmac_f32_e32 v47, v11, v64
	v_mul_f32_e32 v69, v10, v71
	v_mul_f32_e32 v71, v43, v73
	v_mul_f32_e32 v33, v1, v75
	v_mul_f32_e32 v73, v5, v75
	v_mul_f32_e32 v34, v18, v77
	v_mul_f32_e32 v75, v8, v77
	v_mul_f32_e32 v77, v9, v79
	v_fmac_f32_e32 v27, v14, v68
	v_fmac_f32_e32 v37, v10, v70
	v_mul_f32_e32 v36, v61, v81
	v_fmac_f32_e32 v38, v16, v66
	v_fmac_f32_e32 v39, v43, v72
	v_fma_f32 v40, v3, v48, -v40
	v_fma_f32 v21, v21, v64, -v63
	v_fmac_f32_e32 v35, v9, v78
	v_add_f32_e32 v9, v44, v45
	v_fma_f32 v17, v25, v50, -v49
	v_fma_f32 v23, v23, v62, -v51
	;; [unrolled: 1-line block ×3, first 2 shown]
	v_add_f32_e32 v22, v41, v47
	v_fma_f32 v11, v24, v66, -v65
	v_fma_f32 v15, v20, v70, -v69
	;; [unrolled: 1-line block ×3, first 2 shown]
	v_fmac_f32_e32 v33, v5, v74
	v_fma_f32 v5, v19, v78, -v77
	v_sub_f32_e32 v19, v41, v44
	v_sub_f32_e32 v20, v47, v45
	;; [unrolled: 1-line block ×4, first 2 shown]
	v_add_f32_e32 v43, v27, v37
	v_mul_f32_e32 v79, v54, v81
	v_fmac_f32_e32 v36, v54, v80
	v_add_f32_e32 v54, v38, v39
	v_fmac_f32_e32 v34, v8, v76
	v_add_f32_e32 v8, v42, v41
	v_sub_f32_e32 v16, v40, v21
	v_fma_f32 v9, -0.5, v9, v42
	v_fma_f32 v3, v18, v76, -v75
	v_sub_f32_e32 v18, v17, v23
	v_sub_f32_e32 v50, v38, v27
	;; [unrolled: 1-line block ×3, first 2 shown]
	v_fmac_f32_e32 v42, -0.5, v22
	v_add_f32_e32 v26, v6, v38
	v_sub_f32_e32 v48, v11, v10
	v_add_f32_e32 v19, v19, v20
	v_add_f32_e32 v20, v24, v25
	v_fma_f32 v24, -0.5, v43, v6
	v_sub_f32_e32 v49, v14, v15
	v_fmac_f32_e32 v6, -0.5, v54
	v_add_f32_e32 v8, v8, v44
	v_fmamk_f32 v43, v16, 0xbf737871, v9
	v_add_f32_e32 v25, v50, v51
	v_fmamk_f32 v50, v18, 0x3f737871, v42
	v_fmac_f32_e32 v42, 0xbf737871, v18
	v_fmac_f32_e32 v9, 0x3f737871, v16
	v_add_f32_e32 v22, v26, v27
	v_fmamk_f32 v51, v48, 0xbf737871, v24
	v_fma_f32 v7, v61, v80, -v79
	v_sub_f32_e32 v61, v27, v38
	v_sub_f32_e32 v62, v37, v39
	v_fmamk_f32 v54, v49, 0x3f737871, v6
	v_fmac_f32_e32 v6, 0xbf737871, v49
	v_add_f32_e32 v8, v8, v45
	v_fmac_f32_e32 v24, 0x3f737871, v48
	v_fmac_f32_e32 v43, 0xbf167918, v18
	;; [unrolled: 1-line block ×5, first 2 shown]
	v_add_f32_e32 v22, v22, v37
	v_fmac_f32_e32 v51, 0xbf167918, v49
	v_add_f32_e32 v26, v61, v62
	v_fmac_f32_e32 v54, 0xbf167918, v48
	v_fmac_f32_e32 v6, 0x3f167918, v48
	v_fma_f32 v1, v1, v74, -v73
	v_add_f32_e32 v8, v8, v47
	v_fmac_f32_e32 v24, 0x3f167918, v49
	v_fmac_f32_e32 v43, 0x3e9e377a, v19
	;; [unrolled: 1-line block ×5, first 2 shown]
	v_add_f32_e32 v16, v22, v39
	v_fmac_f32_e32 v51, 0x3e9e377a, v25
	v_fmac_f32_e32 v54, 0x3e9e377a, v26
	;; [unrolled: 1-line block ×4, first 2 shown]
	ds_write2_b32 v32, v8, v43 offset1:34
	ds_write2_b32 v32, v50, v42 offset0:68 offset1:102
	ds_write_b32 v32, v9 offset:544
	ds_write2_b32 v31, v16, v51 offset1:34
	ds_write2_b32 v31, v54, v6 offset0:68 offset1:102
	ds_write_b32 v31, v24 offset:544
	s_and_saveexec_b32 s1, s0
	s_cbranch_execz .LBB0_20
; %bb.19:
	v_add_f32_e32 v6, v33, v36
	v_add_f32_e32 v16, v34, v35
	v_sub_f32_e32 v8, v34, v33
	v_sub_f32_e32 v9, v35, v36
	;; [unrolled: 1-line block ×3, first 2 shown]
	v_fma_f32 v6, -0.5, v6, v4
	v_fma_f32 v16, -0.5, v16, v4
	v_add_f32_e32 v4, v4, v33
	v_sub_f32_e32 v18, v3, v5
	v_sub_f32_e32 v20, v33, v34
	;; [unrolled: 1-line block ×3, first 2 shown]
	v_add_f32_e32 v8, v8, v9
	v_fmamk_f32 v9, v19, 0x3f737871, v16
	v_fmac_f32_e32 v16, 0xbf737871, v19
	v_add_f32_e32 v4, v4, v34
	v_fmamk_f32 v24, v18, 0xbf737871, v6
	v_fmac_f32_e32 v6, 0x3f737871, v18
	v_add_f32_e32 v20, v20, v22
	v_fmac_f32_e32 v16, 0xbf167918, v18
	v_add_f32_e32 v4, v4, v35
	v_mad_u32_u24 v22, 0x2a8, v30, 0
	v_lshlrev_b32_sdwa v25, v46, v29 dst_sel:DWORD dst_unused:UNUSED_PAD src0_sel:DWORD src1_sel:BYTE_0
	v_fmac_f32_e32 v24, 0x3f167918, v19
	v_fmac_f32_e32 v6, 0xbf167918, v19
	;; [unrolled: 1-line block ×4, first 2 shown]
	v_add_f32_e32 v4, v4, v36
	v_add3_u32 v18, v22, v25, v53
	v_fmac_f32_e32 v24, 0x3e9e377a, v8
	v_fmac_f32_e32 v6, 0x3e9e377a, v8
	;; [unrolled: 1-line block ×3, first 2 shown]
	ds_write2_b32 v18, v4, v16 offset1:34
	ds_write2_b32 v18, v6, v24 offset0:68 offset1:102
	ds_write_b32 v18, v9 offset:544
.LBB0_20:
	s_or_b32 exec_lo, exec_lo, s1
	v_add_f32_e32 v4, v17, v23
	v_sub_f32_e32 v8, v41, v47
	v_sub_f32_e32 v9, v44, v45
	;; [unrolled: 1-line block ×4, first 2 shown]
	v_fma_f32 v4, -0.5, v4, v28
	v_add_f32_e32 v19, v40, v21
	v_add_f32_e32 v6, v28, v40
	v_add_nc_u32_e32 v24, 0xa00, v56
	v_add_f32_e32 v16, v16, v18
	v_fmamk_f32 v41, v8, 0x3f737871, v4
	v_fmac_f32_e32 v4, 0xbf737871, v8
	v_fmac_f32_e32 v28, -0.5, v19
	v_add_f32_e32 v6, v6, v17
	v_add_f32_e32 v18, v14, v15
	v_fmac_f32_e32 v41, 0x3f167918, v9
	v_fmac_f32_e32 v4, 0xbf167918, v9
	v_fmamk_f32 v42, v9, 0xbf737871, v28
	v_fmac_f32_e32 v28, 0x3f737871, v9
	v_add_f32_e32 v9, v2, v11
	v_fmac_f32_e32 v41, 0x3e9e377a, v16
	v_fmac_f32_e32 v4, 0x3e9e377a, v16
	v_sub_f32_e32 v16, v17, v40
	v_sub_f32_e32 v17, v23, v21
	v_fmac_f32_e32 v42, 0x3f167918, v8
	v_fmac_f32_e32 v28, 0xbf167918, v8
	v_add_f32_e32 v6, v6, v23
	v_add_f32_e32 v8, v9, v14
	;; [unrolled: 1-line block ×4, first 2 shown]
	v_fma_f32 v40, -0.5, v18, v2
	v_add_nc_u32_e32 v18, 0x400, v56
	v_add_nc_u32_e32 v19, 0x800, v56
	v_fmac_f32_e32 v42, 0x3e9e377a, v16
	v_fmac_f32_e32 v28, 0x3e9e377a, v16
	v_add_nc_u32_e32 v16, 0x200, v56
	v_add_nc_u32_e32 v25, 0xc00, v56
	v_add_f32_e32 v6, v6, v21
	v_sub_f32_e32 v38, v38, v39
	v_sub_f32_e32 v37, v27, v37
	v_add_f32_e32 v8, v8, v15
	v_fmac_f32_e32 v2, -0.5, v17
	v_sub_f32_e32 v39, v11, v14
	v_sub_f32_e32 v43, v10, v15
	;; [unrolled: 1-line block ×4, first 2 shown]
	s_waitcnt lgkmcnt(0)
	s_barrier
	buffer_gl0_inv
	ds_read2_b32 v[14:15], v56 offset0:85 offset1:170
	ds_read2_b32 v[16:17], v16 offset0:127 offset1:212
	;; [unrolled: 1-line block ×6, first 2 shown]
	ds_read_b32 v26, v55
	ds_read_b32 v27, v56 offset:4420
	v_fmamk_f32 v9, v38, 0x3f737871, v40
	v_fmamk_f32 v44, v37, 0xbf737871, v2
	v_fmac_f32_e32 v2, 0x3f737871, v37
	v_fmac_f32_e32 v40, 0xbf737871, v38
	v_add_f32_e32 v39, v39, v43
	v_fmac_f32_e32 v9, 0x3f167918, v37
	v_fmac_f32_e32 v44, 0x3f167918, v38
	v_add_f32_e32 v11, v11, v45
	;; [unrolled: 3-line block ×3, first 2 shown]
	v_fmac_f32_e32 v9, 0x3e9e377a, v39
	v_fmac_f32_e32 v44, 0x3e9e377a, v11
	;; [unrolled: 1-line block ×4, first 2 shown]
	s_waitcnt lgkmcnt(0)
	s_barrier
	buffer_gl0_inv
	ds_write2_b32 v32, v6, v41 offset1:34
	ds_write2_b32 v32, v42, v28 offset0:68 offset1:102
	ds_write_b32 v32, v4 offset:544
	ds_write2_b32 v31, v8, v9 offset1:34
	ds_write2_b32 v31, v44, v2 offset0:68 offset1:102
	ds_write_b32 v31, v40 offset:544
	s_and_saveexec_b32 s1, s0
	s_cbranch_execz .LBB0_22
; %bb.21:
	v_add_f32_e32 v2, v0, v1
	v_add_f32_e32 v4, v3, v5
	;; [unrolled: 1-line block ×3, first 2 shown]
	v_sub_f32_e32 v6, v33, v36
	v_sub_f32_e32 v8, v34, v35
	v_add_f32_e32 v2, v2, v3
	v_fma_f32 v4, -0.5, v4, v0
	v_sub_f32_e32 v10, v1, v3
	v_sub_f32_e32 v11, v7, v5
	v_fmac_f32_e32 v0, -0.5, v9
	v_add_f32_e32 v2, v2, v5
	v_fmamk_f32 v9, v6, 0x3f737871, v4
	v_sub_f32_e32 v1, v3, v1
	v_sub_f32_e32 v3, v5, v7
	v_mov_b32_e32 v5, 2
	v_add_f32_e32 v10, v10, v11
	v_fmamk_f32 v11, v8, 0xbf737871, v0
	v_fmac_f32_e32 v0, 0x3f737871, v8
	v_fmac_f32_e32 v4, 0xbf737871, v6
	;; [unrolled: 1-line block ×3, first 2 shown]
	v_add_f32_e32 v1, v1, v3
	v_mad_u32_u24 v3, 0x2a8, v30, 0
	v_lshlrev_b32_sdwa v5, v5, v29 dst_sel:DWORD dst_unused:UNUSED_PAD src0_sel:DWORD src1_sel:BYTE_0
	v_fmac_f32_e32 v11, 0x3f167918, v6
	v_fmac_f32_e32 v0, 0xbf167918, v6
	;; [unrolled: 1-line block ×3, first 2 shown]
	v_add_f32_e32 v2, v2, v7
	v_fmac_f32_e32 v9, 0x3e9e377a, v10
	v_add3_u32 v3, v3, v5, v53
	v_fmac_f32_e32 v11, 0x3e9e377a, v1
	v_fmac_f32_e32 v0, 0x3e9e377a, v1
	;; [unrolled: 1-line block ×3, first 2 shown]
	ds_write2_b32 v3, v2, v9 offset1:34
	ds_write2_b32 v3, v11, v0 offset0:68 offset1:102
	ds_write_b32 v3, v4 offset:544
.LBB0_22:
	s_or_b32 exec_lo, exec_lo, s1
	s_waitcnt lgkmcnt(0)
	s_barrier
	buffer_gl0_inv
	s_and_saveexec_b32 s0, vcc_lo
	s_cbranch_execz .LBB0_24
; %bb.23:
	v_mul_u32_u24_e32 v0, 6, v57
	v_mul_u32_u24_e32 v28, 6, v52
	v_add_nc_u32_e32 v72, 0x2a8, v52
	v_add_nc_u32_e32 v73, 0x352, v52
	;; [unrolled: 1-line block ×3, first 2 shown]
	v_lshlrev_b32_e32 v0, 3, v0
	v_lshlrev_b32_e32 v36, 3, v28
	v_add_nc_u32_e32 v48, 0x200, v56
	v_add_co_u32 v85, vcc_lo, s12, v12
	s_clause 0x5
	global_load_dwordx4 v[8:11], v0, s[8:9] offset:1240
	global_load_dwordx4 v[4:7], v0, s[8:9] offset:1256
	;; [unrolled: 1-line block ×6, first 2 shown]
	v_mul_hi_u32 v69, 0xc0c0c0c1, v57
	v_add_nc_u32_e32 v50, 0xa00, v56
	v_mad_u64_u32 v[42:43], null, s2, v52, 0
	v_mad_u64_u32 v[44:45], null, s2, v59, 0
	v_add_nc_u32_e32 v53, 0x800, v56
	v_add_co_ci_u32_e32 v86, vcc_lo, s13, v13, vcc_lo
	v_mad_u64_u32 v[12:13], null, s2, v58, 0
	v_mad_u64_u32 v[63:64], null, s2, v72, 0
	v_add_nc_u32_e32 v61, 0x400, v56
	v_mad_u64_u32 v[65:66], null, s2, v73, 0
	v_add_nc_u32_e32 v62, 0xc00, v56
	v_mad_u64_u32 v[46:47], null, s2, v60, 0
	v_mad_u64_u32 v[67:68], null, s2, v74, 0
	ds_read2_b32 v[40:41], v56 offset0:85 offset1:170
	ds_read_b32 v83, v56 offset:4420
	ds_read_b32 v84, v55
	ds_read2_b32 v[48:49], v48 offset0:127 offset1:212
	ds_read2_b32 v[50:51], v50 offset0:125 offset1:210
	;; [unrolled: 1-line block ×5, first 2 shown]
	v_lshrrev_b32_e32 v75, 7, v69
	v_mad_u64_u32 v[69:70], null, s3, v52, v[43:44]
	v_mad_u64_u32 v[70:71], null, s3, v58, v[13:14]
	v_mov_b32_e32 v13, v64
	v_mov_b32_e32 v43, v66
	v_mad_u64_u32 v[58:59], null, s3, v59, v[45:46]
	v_mov_b32_e32 v45, v68
	v_mad_u32_u24 v78, 0x3fc, v75, v57
	v_mad_u64_u32 v[71:72], null, s3, v72, v[13:14]
	v_mad_u64_u32 v[72:73], null, s3, v73, v[43:44]
	;; [unrolled: 1-line block ×4, first 2 shown]
	s_waitcnt lgkmcnt(4)
	v_mad_u64_u32 v[59:60], null, s3, v60, v[47:48]
	v_add_nc_u32_e32 v79, 0xaa, v78
	v_add_nc_u32_e32 v80, 0x154, v78
	;; [unrolled: 1-line block ×4, first 2 shown]
	v_mov_b32_e32 v45, v58
	v_mad_u64_u32 v[57:58], null, s2, v79, 0
	v_mov_b32_e32 v52, v75
	v_mov_b32_e32 v47, v59
	v_mad_u64_u32 v[59:60], null, s2, v80, 0
	v_mov_b32_e32 v43, v69
	v_mov_b32_e32 v13, v70
	v_mad_u64_u32 v[69:70], null, s2, v81, 0
	v_mad_u64_u32 v[76:77], null, s2, v82, 0
	v_mov_b32_e32 v64, v71
	v_mov_b32_e32 v66, v72
	s_waitcnt lgkmcnt(2)
	v_mad_u64_u32 v[71:72], null, s3, v78, v[52:53]
	v_mov_b32_e32 v52, v58
	v_mov_b32_e32 v58, v60
	;; [unrolled: 1-line block ×4, first 2 shown]
	v_add_nc_u32_e32 v87, 0x352, v78
	v_mad_u64_u32 v[72:73], null, s3, v79, v[52:53]
	v_mov_b32_e32 v52, v77
	v_mov_b32_e32 v75, v71
	v_add_nc_u32_e32 v88, 0x3fc, v78
	v_mad_u64_u32 v[78:79], null, s3, v80, v[58:59]
	s_waitcnt lgkmcnt(0)
	v_mad_u64_u32 v[79:80], null, s3, v81, v[60:61]
	v_mad_u64_u32 v[80:81], null, s3, v82, v[52:53]
	v_lshlrev_b64 v[70:71], 3, v[74:75]
	v_lshlrev_b64 v[42:43], 3, v[42:43]
	;; [unrolled: 1-line block ×7, first 2 shown]
	v_add_co_u32 v42, vcc_lo, v85, v42
	v_add_co_ci_u32_e32 v43, vcc_lo, v86, v43, vcc_lo
	v_add_co_u32 v12, vcc_lo, v85, v12
	v_add_co_ci_u32_e32 v13, vcc_lo, v86, v13, vcc_lo
	;; [unrolled: 2-line block ×4, first 2 shown]
	v_add_co_u32 v63, vcc_lo, v85, v63
	v_lshlrev_b64 v[67:68], 3, v[67:68]
	v_mad_u64_u32 v[81:82], null, s2, v87, 0
	v_mov_b32_e32 v58, v72
	v_add_co_ci_u32_e32 v64, vcc_lo, v86, v64, vcc_lo
	v_add_co_u32 v65, vcc_lo, v85, v65
	v_add_co_ci_u32_e32 v66, vcc_lo, v86, v66, vcc_lo
	v_add_co_u32 v67, vcc_lo, v85, v67
	v_lshlrev_b64 v[57:58], 3, v[57:58]
	v_mad_u64_u32 v[72:73], null, s2, v88, 0
	v_add_co_ci_u32_e32 v68, vcc_lo, v86, v68, vcc_lo
	v_add_co_u32 v70, vcc_lo, v85, v70
	v_add_co_ci_u32_e32 v71, vcc_lo, v86, v71, vcc_lo
	v_add_co_u32 v57, vcc_lo, v85, v57
	v_add_co_ci_u32_e32 v58, vcc_lo, v86, v58, vcc_lo
	v_mov_b32_e32 v60, v78
	v_mov_b32_e32 v77, v80
	s_waitcnt vmcnt(5)
	v_mul_f32_e32 v52, v18, v10
	v_mul_f32_e32 v74, v20, v8
	v_mul_f32_e32 v18, v18, v11
	v_mul_f32_e32 v20, v20, v9
	v_fmac_f32_e32 v52, v50, v11
	v_fmac_f32_e32 v74, v53, v9
	v_fma_f32 v9, v50, v10, -v18
	s_waitcnt vmcnt(4)
	v_mul_f32_e32 v10, v27, v6
	v_mul_f32_e32 v11, v27, v7
	v_fma_f32 v8, v53, v8, -v20
	s_waitcnt vmcnt(3)
	v_mul_f32_e32 v18, v16, v0
	v_mul_f32_e32 v20, v24, v4
	;; [unrolled: 1-line block ×3, first 2 shown]
	v_fmac_f32_e32 v10, v83, v7
	v_fma_f32 v6, v83, v6, -v11
	v_mul_f32_e32 v7, v22, v2
	v_mul_f32_e32 v11, v16, v1
	;; [unrolled: 1-line block ×3, first 2 shown]
	v_fmac_f32_e32 v20, v61, v5
	v_fma_f32 v5, v61, v4, -v24
	v_fmac_f32_e32 v18, v48, v1
	v_fmac_f32_e32 v7, v55, v3
	v_fma_f32 v0, v48, v0, -v11
	v_fma_f32 v1, v55, v2, -v16
	s_waitcnt vmcnt(2)
	v_mul_f32_e32 v2, v15, v28
	s_waitcnt vmcnt(1)
	v_mul_f32_e32 v3, v25, v34
	s_waitcnt vmcnt(0)
	v_mul_f32_e32 v11, v21, v38
	v_mul_f32_e32 v16, v23, v36
	v_mul_f32_e32 v22, v25, v35
	;; [unrolled: 1-line block ×9, first 2 shown]
	v_fmac_f32_e32 v2, v41, v29
	v_fmac_f32_e32 v3, v62, v35
	;; [unrolled: 1-line block ×6, first 2 shown]
	v_fma_f32 v22, v62, v34, -v22
	v_fma_f32 v15, v41, v28, -v15
	;; [unrolled: 1-line block ×6, first 2 shown]
	v_sub_f32_e32 v27, v18, v10
	v_sub_f32_e32 v28, v52, v74
	;; [unrolled: 1-line block ×3, first 2 shown]
	v_add_f32_e32 v30, v0, v6
	v_add_f32_e32 v31, v9, v8
	;; [unrolled: 1-line block ×6, first 2 shown]
	v_sub_f32_e32 v0, v0, v6
	v_sub_f32_e32 v6, v9, v8
	v_sub_f32_e32 v1, v1, v5
	v_sub_f32_e32 v5, v2, v3
	v_sub_f32_e32 v8, v11, v16
	v_add_f32_e32 v20, v15, v22
	v_add_f32_e32 v34, v17, v19
	;; [unrolled: 1-line block ×5, first 2 shown]
	v_sub_f32_e32 v9, v24, v25
	v_add_f32_e32 v33, v21, v23
	v_sub_f32_e32 v15, v15, v22
	v_sub_f32_e32 v16, v21, v23
	;; [unrolled: 1-line block ×5, first 2 shown]
	v_add_f32_e32 v22, v28, v29
	v_sub_f32_e32 v23, v30, v31
	v_sub_f32_e32 v24, v31, v32
	v_add_f32_e32 v25, v30, v32
	v_sub_f32_e32 v28, v10, v18
	v_sub_f32_e32 v35, v18, v7
	v_add_f32_e32 v36, v10, v7
	v_sub_f32_e32 v38, v6, v1
	v_sub_f32_e32 v29, v29, v27
	v_sub_f32_e32 v7, v7, v10
	v_sub_f32_e32 v10, v1, v0
	v_add_f32_e32 v48, v20, v34
	v_add_f32_e32 v51, v2, v11
	v_sub_f32_e32 v37, v0, v6
	v_add_f32_e32 v6, v6, v1
	v_sub_f32_e32 v30, v32, v30
	v_sub_f32_e32 v32, v5, v8
	;; [unrolled: 1-line block ×3, first 2 shown]
	v_add_f32_e32 v8, v8, v9
	v_sub_f32_e32 v39, v20, v33
	v_sub_f32_e32 v41, v33, v34
	;; [unrolled: 1-line block ×6, first 2 shown]
	v_add_f32_e32 v16, v16, v17
	v_sub_f32_e32 v9, v9, v5
	v_sub_f32_e32 v20, v34, v20
	;; [unrolled: 1-line block ×4, first 2 shown]
	v_mul_f32_e32 v2, 0x3f08b237, v21
	v_add_f32_e32 v21, v27, v22
	v_mul_f32_e32 v22, 0x3f4a47b2, v23
	v_mul_f32_e32 v24, 0x3d64c772, v24
	v_add_f32_e32 v25, v31, v25
	v_mul_f32_e32 v27, 0x3f4a47b2, v28
	;; [unrolled: 3-line block ×3, first 2 shown]
	v_mul_f32_e32 v35, 0xbf5ff5aa, v29
	v_mul_f32_e32 v36, 0xbf5ff5aa, v10
	v_add_f32_e32 v33, v33, v48
	v_add_f32_e32 v51, v3, v51
	v_add_f32_e32 v6, v0, v6
	v_mul_f32_e32 v38, 0x3f08b237, v1
	v_add_f32_e32 v5, v5, v8
	v_mul_f32_e32 v8, 0x3f4a47b2, v39
	v_mul_f32_e32 v41, 0x3d64c772, v41
	;; [unrolled: 1-line block ×5, first 2 shown]
	v_add_f32_e32 v15, v15, v16
	v_mul_f32_e32 v16, 0xbf5ff5aa, v9
	v_mul_f32_e32 v54, 0xbf5ff5aa, v17
	v_fmamk_f32 v55, v19, 0xbeae86e6, v2
	v_fmamk_f32 v23, v23, 0x3f4a47b2, v24
	v_add_f32_e32 v1, v40, v25
	v_add_f32_e32 v0, v14, v18
	v_fmamk_f32 v40, v37, 0xbeae86e6, v34
	v_fma_f32 v14, 0x3eae86e6, v19, -v35
	v_fma_f32 v19, 0xbf3bfb3b, v30, -v22
	;; [unrolled: 1-line block ×7, first 2 shown]
	v_add_f32_e32 v3, v84, v33
	v_add_f32_e32 v2, v26, v51
	v_fmamk_f32 v28, v28, 0x3f4a47b2, v31
	v_fma_f32 v7, 0x3f3bfb3b, v7, -v31
	v_fmamk_f32 v31, v32, 0xbeae86e6, v38
	v_fmamk_f32 v10, v39, 0x3f4a47b2, v41
	v_fmamk_f32 v34, v49, 0x3f4a47b2, v50
	v_fmamk_f32 v26, v52, 0xbeae86e6, v53
	v_fma_f32 v32, 0x3eae86e6, v32, -v16
	v_fma_f32 v8, 0xbf3bfb3b, v20, -v8
	;; [unrolled: 1-line block ×7, first 2 shown]
	v_fmamk_f32 v11, v25, 0xbf955555, v1
	v_fmamk_f32 v17, v18, 0xbf955555, v0
	v_fmac_f32_e32 v40, 0xbee1c552, v6
	v_fmac_f32_e32 v27, 0xbee1c552, v6
	;; [unrolled: 1-line block ×3, first 2 shown]
	v_fmamk_f32 v6, v33, 0xbf955555, v3
	v_fmamk_f32 v18, v51, 0xbf955555, v2
	v_fma_f32 v20, 0x3f3bfb3b, v20, -v41
	v_fmac_f32_e32 v55, 0xbee1c552, v21
	v_fmac_f32_e32 v14, 0xbee1c552, v21
	;; [unrolled: 1-line block ×8, first 2 shown]
	v_add_f32_e32 v21, v23, v11
	v_add_f32_e32 v23, v28, v17
	v_add_f32_e32 v15, v19, v11
	v_add_f32_e32 v19, v22, v17
	v_add_f32_e32 v11, v24, v11
	v_add_f32_e32 v17, v7, v17
	v_add_f32_e32 v22, v10, v6
	v_add_f32_e32 v24, v34, v18
	v_add_f32_e32 v28, v8, v6
	v_add_f32_e32 v33, v16, v18
	v_fmac_f32_e32 v36, 0xbee1c552, v5
	v_add_f32_e32 v20, v20, v6
	v_add_f32_e32 v34, v9, v18
	v_mov_b32_e32 v4, v82
	global_store_dwordx2 v[42:43], v[2:3], off
	v_add_f32_e32 v3, v55, v21
	v_add_f32_e32 v6, v14, v15
	v_sub_f32_e32 v5, v19, v27
	v_sub_f32_e32 v8, v11, v29
	v_add_f32_e32 v7, v30, v17
	v_add_f32_e32 v10, v29, v11
	v_sub_f32_e32 v9, v17, v30
	v_sub_f32_e32 v15, v15, v14
	v_add_f32_e32 v14, v27, v19
	v_sub_f32_e32 v17, v21, v55
	v_add_f32_e32 v21, v32, v28
	v_sub_f32_e32 v27, v28, v32
	v_sub_f32_e32 v29, v22, v31
	v_add_f32_e32 v28, v26, v24
	v_sub_f32_e32 v18, v24, v26
	v_add_f32_e32 v26, v35, v33
	v_add_f32_e32 v25, v36, v20
	v_sub_f32_e32 v24, v34, v37
	v_sub_f32_e32 v2, v23, v40
	v_add_f32_e32 v16, v40, v23
	v_add_f32_e32 v19, v31, v22
	v_sub_f32_e32 v23, v20, v36
	v_add_f32_e32 v22, v37, v34
	v_sub_f32_e32 v20, v33, v35
	global_store_dwordx2 v[12:13], v[28:29], off
	global_store_dwordx2 v[44:45], v[26:27], off
	;; [unrolled: 1-line block ×8, first 2 shown]
	v_mad_u64_u32 v[11:12], null, s3, v87, v[4:5]
	v_mov_b32_e32 v4, v73
	v_mov_b32_e32 v70, v79
	v_lshlrev_b64 v[0:1], 3, v[59:60]
	v_mad_u64_u32 v[16:17], null, s3, v88, v[4:5]
	v_lshlrev_b64 v[12:13], 3, v[69:70]
	v_mov_b32_e32 v82, v11
	v_add_co_u32 v0, vcc_lo, v85, v0
	v_lshlrev_b64 v[17:18], 3, v[76:77]
	v_add_co_ci_u32_e32 v1, vcc_lo, v86, v1, vcc_lo
	v_mov_b32_e32 v73, v16
	v_add_co_u32 v11, vcc_lo, v85, v12
	v_lshlrev_b64 v[19:20], 3, v[81:82]
	v_add_co_ci_u32_e32 v12, vcc_lo, v86, v13, vcc_lo
	v_add_co_u32 v16, vcc_lo, v85, v17
	v_lshlrev_b64 v[21:22], 3, v[72:73]
	v_add_co_ci_u32_e32 v17, vcc_lo, v86, v18, vcc_lo
	v_add_co_u32 v18, vcc_lo, v85, v19
	v_add_co_ci_u32_e32 v19, vcc_lo, v86, v20, vcc_lo
	v_add_co_u32 v20, vcc_lo, v85, v21
	v_add_co_ci_u32_e32 v21, vcc_lo, v86, v22, vcc_lo
	global_store_dwordx2 v[0:1], v[14:15], off
	global_store_dwordx2 v[11:12], v[9:10], off
	;; [unrolled: 1-line block ×5, first 2 shown]
.LBB0_24:
	s_endpgm
	.section	.rodata,"a",@progbits
	.p2align	6, 0x0
	.amdhsa_kernel fft_rtc_back_len1190_factors_17_2_5_7_wgs_255_tpt_85_halfLds_sp_ip_CI_sbrr_dirReg
		.amdhsa_group_segment_fixed_size 0
		.amdhsa_private_segment_fixed_size 0
		.amdhsa_kernarg_size 88
		.amdhsa_user_sgpr_count 6
		.amdhsa_user_sgpr_private_segment_buffer 1
		.amdhsa_user_sgpr_dispatch_ptr 0
		.amdhsa_user_sgpr_queue_ptr 0
		.amdhsa_user_sgpr_kernarg_segment_ptr 1
		.amdhsa_user_sgpr_dispatch_id 0
		.amdhsa_user_sgpr_flat_scratch_init 0
		.amdhsa_user_sgpr_private_segment_size 0
		.amdhsa_wavefront_size32 1
		.amdhsa_uses_dynamic_stack 0
		.amdhsa_system_sgpr_private_segment_wavefront_offset 0
		.amdhsa_system_sgpr_workgroup_id_x 1
		.amdhsa_system_sgpr_workgroup_id_y 0
		.amdhsa_system_sgpr_workgroup_id_z 0
		.amdhsa_system_sgpr_workgroup_info 0
		.amdhsa_system_vgpr_workitem_id 0
		.amdhsa_next_free_vgpr 89
		.amdhsa_next_free_sgpr 23
		.amdhsa_reserve_vcc 1
		.amdhsa_reserve_flat_scratch 0
		.amdhsa_float_round_mode_32 0
		.amdhsa_float_round_mode_16_64 0
		.amdhsa_float_denorm_mode_32 3
		.amdhsa_float_denorm_mode_16_64 3
		.amdhsa_dx10_clamp 1
		.amdhsa_ieee_mode 1
		.amdhsa_fp16_overflow 0
		.amdhsa_workgroup_processor_mode 1
		.amdhsa_memory_ordered 1
		.amdhsa_forward_progress 0
		.amdhsa_shared_vgpr_count 0
		.amdhsa_exception_fp_ieee_invalid_op 0
		.amdhsa_exception_fp_denorm_src 0
		.amdhsa_exception_fp_ieee_div_zero 0
		.amdhsa_exception_fp_ieee_overflow 0
		.amdhsa_exception_fp_ieee_underflow 0
		.amdhsa_exception_fp_ieee_inexact 0
		.amdhsa_exception_int_div_zero 0
	.end_amdhsa_kernel
	.text
.Lfunc_end0:
	.size	fft_rtc_back_len1190_factors_17_2_5_7_wgs_255_tpt_85_halfLds_sp_ip_CI_sbrr_dirReg, .Lfunc_end0-fft_rtc_back_len1190_factors_17_2_5_7_wgs_255_tpt_85_halfLds_sp_ip_CI_sbrr_dirReg
                                        ; -- End function
	.section	.AMDGPU.csdata,"",@progbits
; Kernel info:
; codeLenInByte = 12868
; NumSgprs: 25
; NumVgprs: 89
; ScratchSize: 0
; MemoryBound: 0
; FloatMode: 240
; IeeeMode: 1
; LDSByteSize: 0 bytes/workgroup (compile time only)
; SGPRBlocks: 3
; VGPRBlocks: 11
; NumSGPRsForWavesPerEU: 25
; NumVGPRsForWavesPerEU: 89
; Occupancy: 10
; WaveLimiterHint : 1
; COMPUTE_PGM_RSRC2:SCRATCH_EN: 0
; COMPUTE_PGM_RSRC2:USER_SGPR: 6
; COMPUTE_PGM_RSRC2:TRAP_HANDLER: 0
; COMPUTE_PGM_RSRC2:TGID_X_EN: 1
; COMPUTE_PGM_RSRC2:TGID_Y_EN: 0
; COMPUTE_PGM_RSRC2:TGID_Z_EN: 0
; COMPUTE_PGM_RSRC2:TIDIG_COMP_CNT: 0
	.text
	.p2alignl 6, 3214868480
	.fill 48, 4, 3214868480
	.type	__hip_cuid_221e37fbc46d2c64,@object ; @__hip_cuid_221e37fbc46d2c64
	.section	.bss,"aw",@nobits
	.globl	__hip_cuid_221e37fbc46d2c64
__hip_cuid_221e37fbc46d2c64:
	.byte	0                               ; 0x0
	.size	__hip_cuid_221e37fbc46d2c64, 1

	.ident	"AMD clang version 19.0.0git (https://github.com/RadeonOpenCompute/llvm-project roc-6.4.0 25133 c7fe45cf4b819c5991fe208aaa96edf142730f1d)"
	.section	".note.GNU-stack","",@progbits
	.addrsig
	.addrsig_sym __hip_cuid_221e37fbc46d2c64
	.amdgpu_metadata
---
amdhsa.kernels:
  - .args:
      - .actual_access:  read_only
        .address_space:  global
        .offset:         0
        .size:           8
        .value_kind:     global_buffer
      - .offset:         8
        .size:           8
        .value_kind:     by_value
      - .actual_access:  read_only
        .address_space:  global
        .offset:         16
        .size:           8
        .value_kind:     global_buffer
      - .actual_access:  read_only
        .address_space:  global
        .offset:         24
        .size:           8
        .value_kind:     global_buffer
      - .offset:         32
        .size:           8
        .value_kind:     by_value
      - .actual_access:  read_only
        .address_space:  global
        .offset:         40
        .size:           8
        .value_kind:     global_buffer
      - .actual_access:  read_only
        .address_space:  global
        .offset:         48
        .size:           8
        .value_kind:     global_buffer
      - .offset:         56
        .size:           4
        .value_kind:     by_value
      - .actual_access:  read_only
        .address_space:  global
        .offset:         64
        .size:           8
        .value_kind:     global_buffer
      - .actual_access:  read_only
        .address_space:  global
        .offset:         72
        .size:           8
        .value_kind:     global_buffer
      - .address_space:  global
        .offset:         80
        .size:           8
        .value_kind:     global_buffer
    .group_segment_fixed_size: 0
    .kernarg_segment_align: 8
    .kernarg_segment_size: 88
    .language:       OpenCL C
    .language_version:
      - 2
      - 0
    .max_flat_workgroup_size: 255
    .name:           fft_rtc_back_len1190_factors_17_2_5_7_wgs_255_tpt_85_halfLds_sp_ip_CI_sbrr_dirReg
    .private_segment_fixed_size: 0
    .sgpr_count:     25
    .sgpr_spill_count: 0
    .symbol:         fft_rtc_back_len1190_factors_17_2_5_7_wgs_255_tpt_85_halfLds_sp_ip_CI_sbrr_dirReg.kd
    .uniform_work_group_size: 1
    .uses_dynamic_stack: false
    .vgpr_count:     89
    .vgpr_spill_count: 0
    .wavefront_size: 32
    .workgroup_processor_mode: 1
amdhsa.target:   amdgcn-amd-amdhsa--gfx1030
amdhsa.version:
  - 1
  - 2
...

	.end_amdgpu_metadata
